;; amdgpu-corpus repo=ROCm/rocFFT kind=compiled arch=gfx950 opt=O3
	.text
	.amdgcn_target "amdgcn-amd-amdhsa--gfx950"
	.amdhsa_code_object_version 6
	.protected	fft_rtc_back_len1920_factors_10_6_16_2_wgs_240_tpt_120_halfLds_sp_op_CI_CI_sbrr_dirReg ; -- Begin function fft_rtc_back_len1920_factors_10_6_16_2_wgs_240_tpt_120_halfLds_sp_op_CI_CI_sbrr_dirReg
	.globl	fft_rtc_back_len1920_factors_10_6_16_2_wgs_240_tpt_120_halfLds_sp_op_CI_CI_sbrr_dirReg
	.p2align	8
	.type	fft_rtc_back_len1920_factors_10_6_16_2_wgs_240_tpt_120_halfLds_sp_op_CI_CI_sbrr_dirReg,@function
fft_rtc_back_len1920_factors_10_6_16_2_wgs_240_tpt_120_halfLds_sp_op_CI_CI_sbrr_dirReg: ; @fft_rtc_back_len1920_factors_10_6_16_2_wgs_240_tpt_120_halfLds_sp_op_CI_CI_sbrr_dirReg
; %bb.0:
	s_load_dwordx4 s[12:15], s[0:1], 0x18
	s_load_dwordx4 s[8:11], s[0:1], 0x0
	;; [unrolled: 1-line block ×3, first 2 shown]
	v_mul_u32_u24_e32 v1, 0x223, v0
	v_lshrrev_b32_e32 v52, 16, v1
	s_waitcnt lgkmcnt(0)
	s_load_dwordx2 s[18:19], s[12:13], 0x0
	s_load_dwordx2 s[16:17], s[14:15], 0x0
	v_lshl_add_u32 v8, s2, 1, v52
	v_mov_b32_e32 v2, 0
	v_cmp_lt_u64_e64 s[2:3], s[10:11], 2
	v_mov_b32_e32 v9, v2
	s_and_b64 vcc, exec, s[2:3]
	v_mov_b64_e32 v[44:45], 0
	s_cbranch_vccnz .LBB0_8
; %bb.1:
	s_load_dwordx2 s[2:3], s[0:1], 0x10
	s_add_u32 s20, s14, 8
	s_addc_u32 s21, s15, 0
	s_add_u32 s22, s12, 8
	s_addc_u32 s23, s13, 0
	s_waitcnt lgkmcnt(0)
	s_add_u32 s24, s2, 8
	v_mov_b64_e32 v[44:45], 0
	s_addc_u32 s25, s3, 0
	s_mov_b64 s[26:27], 1
	v_mov_b64_e32 v[4:5], v[44:45]
.LBB0_2:                                ; =>This Inner Loop Header: Depth=1
	s_load_dwordx2 s[28:29], s[24:25], 0x0
                                        ; implicit-def: $vgpr6_vgpr7
	s_waitcnt lgkmcnt(0)
	v_or_b32_e32 v3, s29, v9
	v_cmp_ne_u64_e32 vcc, 0, v[2:3]
	s_and_saveexec_b64 s[2:3], vcc
	s_xor_b64 s[30:31], exec, s[2:3]
	s_cbranch_execz .LBB0_4
; %bb.3:                                ;   in Loop: Header=BB0_2 Depth=1
	v_cvt_f32_u32_e32 v1, s28
	v_cvt_f32_u32_e32 v3, s29
	s_sub_u32 s2, 0, s28
	s_subb_u32 s3, 0, s29
	v_fmac_f32_e32 v1, 0x4f800000, v3
	v_rcp_f32_e32 v1, v1
	s_nop 0
	v_mul_f32_e32 v1, 0x5f7ffffc, v1
	v_mul_f32_e32 v3, 0x2f800000, v1
	v_trunc_f32_e32 v3, v3
	v_fmac_f32_e32 v1, 0xcf800000, v3
	v_cvt_u32_f32_e32 v3, v3
	v_cvt_u32_f32_e32 v1, v1
	v_mul_lo_u32 v6, s2, v3
	v_mul_hi_u32 v10, s2, v1
	v_mul_lo_u32 v7, s3, v1
	v_add_u32_e32 v10, v10, v6
	v_mul_lo_u32 v12, s2, v1
	v_add_u32_e32 v13, v10, v7
	v_mul_hi_u32 v6, v1, v12
	v_mul_hi_u32 v11, v1, v13
	v_mul_lo_u32 v10, v1, v13
	v_mov_b32_e32 v7, v2
	v_lshl_add_u64 v[6:7], v[6:7], 0, v[10:11]
	v_mul_hi_u32 v11, v3, v12
	v_mul_lo_u32 v12, v3, v12
	v_add_co_u32_e32 v6, vcc, v6, v12
	v_mul_hi_u32 v10, v3, v13
	s_nop 0
	v_addc_co_u32_e32 v6, vcc, v7, v11, vcc
	v_mov_b32_e32 v7, v2
	s_nop 0
	v_addc_co_u32_e32 v11, vcc, 0, v10, vcc
	v_mul_lo_u32 v10, v3, v13
	v_lshl_add_u64 v[6:7], v[6:7], 0, v[10:11]
	v_add_co_u32_e32 v1, vcc, v1, v6
	v_mul_lo_u32 v10, s2, v1
	s_nop 0
	v_addc_co_u32_e32 v3, vcc, v3, v7, vcc
	v_mul_lo_u32 v6, s2, v3
	v_mul_hi_u32 v7, s2, v1
	v_add_u32_e32 v6, v7, v6
	v_mul_lo_u32 v7, s3, v1
	v_add_u32_e32 v12, v6, v7
	v_mul_hi_u32 v14, v3, v10
	v_mul_lo_u32 v15, v3, v10
	v_mul_hi_u32 v7, v1, v12
	v_mul_lo_u32 v6, v1, v12
	v_mul_hi_u32 v10, v1, v10
	v_mov_b32_e32 v11, v2
	v_lshl_add_u64 v[6:7], v[10:11], 0, v[6:7]
	v_add_co_u32_e32 v6, vcc, v6, v15
	v_mul_hi_u32 v13, v3, v12
	s_nop 0
	v_addc_co_u32_e32 v6, vcc, v7, v14, vcc
	v_mul_lo_u32 v10, v3, v12
	s_nop 0
	v_addc_co_u32_e32 v11, vcc, 0, v13, vcc
	v_mov_b32_e32 v7, v2
	v_lshl_add_u64 v[6:7], v[6:7], 0, v[10:11]
	v_add_co_u32_e32 v1, vcc, v1, v6
	v_mul_hi_u32 v10, v8, v1
	s_nop 0
	v_addc_co_u32_e32 v3, vcc, v3, v7, vcc
	v_mad_u64_u32 v[6:7], s[2:3], v8, v3, 0
	v_mov_b32_e32 v11, v2
	v_lshl_add_u64 v[6:7], v[10:11], 0, v[6:7]
	v_mad_u64_u32 v[12:13], s[2:3], v9, v1, 0
	v_add_co_u32_e32 v1, vcc, v6, v12
	v_mad_u64_u32 v[10:11], s[2:3], v9, v3, 0
	s_nop 0
	v_addc_co_u32_e32 v6, vcc, v7, v13, vcc
	v_mov_b32_e32 v7, v2
	s_nop 0
	v_addc_co_u32_e32 v11, vcc, 0, v11, vcc
	v_lshl_add_u64 v[6:7], v[6:7], 0, v[10:11]
	v_mul_lo_u32 v1, s29, v6
	v_mul_lo_u32 v3, s28, v7
	v_mad_u64_u32 v[10:11], s[2:3], s28, v6, 0
	v_add3_u32 v1, v11, v3, v1
	v_sub_u32_e32 v3, v9, v1
	v_mov_b32_e32 v11, s29
	v_sub_co_u32_e32 v14, vcc, v8, v10
	v_lshl_add_u64 v[12:13], v[6:7], 0, 1
	s_nop 0
	v_subb_co_u32_e64 v3, s[2:3], v3, v11, vcc
	v_subrev_co_u32_e64 v10, s[2:3], s28, v14
	v_subb_co_u32_e32 v1, vcc, v9, v1, vcc
	s_nop 0
	v_subbrev_co_u32_e64 v3, s[2:3], 0, v3, s[2:3]
	v_cmp_le_u32_e64 s[2:3], s29, v3
	v_cmp_le_u32_e32 vcc, s29, v1
	s_nop 0
	v_cndmask_b32_e64 v11, 0, -1, s[2:3]
	v_cmp_le_u32_e64 s[2:3], s28, v10
	s_nop 1
	v_cndmask_b32_e64 v10, 0, -1, s[2:3]
	v_cmp_eq_u32_e64 s[2:3], s29, v3
	s_nop 1
	v_cndmask_b32_e64 v3, v11, v10, s[2:3]
	v_lshl_add_u64 v[10:11], v[6:7], 0, 2
	v_cmp_ne_u32_e64 s[2:3], 0, v3
	s_nop 1
	v_cndmask_b32_e64 v3, v13, v11, s[2:3]
	v_cndmask_b32_e64 v11, 0, -1, vcc
	v_cmp_le_u32_e32 vcc, s28, v14
	s_nop 1
	v_cndmask_b32_e64 v13, 0, -1, vcc
	v_cmp_eq_u32_e32 vcc, s29, v1
	s_nop 1
	v_cndmask_b32_e32 v1, v11, v13, vcc
	v_cmp_ne_u32_e32 vcc, 0, v1
	v_cndmask_b32_e64 v1, v12, v10, s[2:3]
	s_nop 0
	v_cndmask_b32_e32 v7, v7, v3, vcc
	v_cndmask_b32_e32 v6, v6, v1, vcc
.LBB0_4:                                ;   in Loop: Header=BB0_2 Depth=1
	s_andn2_saveexec_b64 s[2:3], s[30:31]
	s_cbranch_execz .LBB0_6
; %bb.5:                                ;   in Loop: Header=BB0_2 Depth=1
	v_cvt_f32_u32_e32 v1, s28
	s_sub_i32 s30, 0, s28
	v_rcp_iflag_f32_e32 v1, v1
	s_nop 0
	v_mul_f32_e32 v1, 0x4f7ffffe, v1
	v_cvt_u32_f32_e32 v1, v1
	v_mul_lo_u32 v3, s30, v1
	v_mul_hi_u32 v3, v1, v3
	v_add_u32_e32 v1, v1, v3
	v_mul_hi_u32 v1, v8, v1
	v_mul_lo_u32 v3, v1, s28
	v_sub_u32_e32 v3, v8, v3
	v_add_u32_e32 v6, 1, v1
	v_subrev_u32_e32 v7, s28, v3
	v_cmp_le_u32_e32 vcc, s28, v3
	s_nop 1
	v_cndmask_b32_e32 v3, v3, v7, vcc
	v_cndmask_b32_e32 v1, v1, v6, vcc
	v_add_u32_e32 v6, 1, v1
	v_cmp_le_u32_e32 vcc, s28, v3
	v_mov_b32_e32 v7, v2
	s_nop 0
	v_cndmask_b32_e32 v6, v1, v6, vcc
.LBB0_6:                                ;   in Loop: Header=BB0_2 Depth=1
	s_or_b64 exec, exec, s[2:3]
	v_mad_u64_u32 v[10:11], s[2:3], v6, s28, 0
	s_load_dwordx2 s[2:3], s[22:23], 0x0
	v_mul_lo_u32 v1, v7, s28
	v_mul_lo_u32 v3, v6, s29
	s_load_dwordx2 s[28:29], s[20:21], 0x0
	s_add_u32 s26, s26, 1
	v_add3_u32 v1, v11, v3, v1
	v_sub_co_u32_e32 v3, vcc, v8, v10
	s_addc_u32 s27, s27, 0
	s_nop 0
	v_subb_co_u32_e32 v1, vcc, v9, v1, vcc
	s_add_u32 s20, s20, 8
	s_waitcnt lgkmcnt(0)
	v_mul_lo_u32 v8, s2, v1
	v_mul_lo_u32 v9, s3, v3
	v_mad_u64_u32 v[44:45], s[2:3], s2, v3, v[44:45]
	s_addc_u32 s21, s21, 0
	v_add3_u32 v45, v9, v45, v8
	v_mul_lo_u32 v1, s28, v1
	v_mul_lo_u32 v8, s29, v3
	v_mad_u64_u32 v[4:5], s[2:3], s28, v3, v[4:5]
	s_add_u32 s22, s22, 8
	v_add3_u32 v5, v8, v5, v1
	s_addc_u32 s23, s23, 0
	v_mov_b64_e32 v[8:9], s[10:11]
	s_add_u32 s24, s24, 8
	v_cmp_ge_u64_e32 vcc, s[26:27], v[8:9]
	s_addc_u32 s25, s25, 0
	s_cbranch_vccnz .LBB0_9
; %bb.7:                                ;   in Loop: Header=BB0_2 Depth=1
	v_mov_b64_e32 v[8:9], v[6:7]
	s_branch .LBB0_2
.LBB0_8:
	v_mov_b64_e32 v[4:5], v[44:45]
	v_mov_b64_e32 v[6:7], v[8:9]
.LBB0_9:
	s_load_dwordx2 s[0:1], s[0:1], 0x28
	s_lshl_b64 s[20:21], s[10:11], 3
	s_add_u32 s10, s14, s20
	s_addc_u32 s11, s15, s21
                                        ; implicit-def: $vgpr2
	s_waitcnt lgkmcnt(0)
	v_cmp_gt_u64_e32 vcc, s[0:1], v[6:7]
	v_cmp_le_u64_e64 s[0:1], s[0:1], v[6:7]
	s_and_saveexec_b64 s[2:3], s[0:1]
	s_xor_b64 s[0:1], exec, s[2:3]
; %bb.10:
	s_mov_b32 s2, 0x2222223
	v_mul_hi_u32 v1, v0, s2
	v_mul_u32_u24_e32 v1, 0x78, v1
	v_sub_u32_e32 v2, v0, v1
                                        ; implicit-def: $vgpr0
                                        ; implicit-def: $vgpr44_vgpr45
; %bb.11:
	s_or_saveexec_b64 s[2:3], s[0:1]
	s_load_dwordx2 s[10:11], s[10:11], 0x0
                                        ; implicit-def: $vgpr8
                                        ; implicit-def: $vgpr30
                                        ; implicit-def: $vgpr28
                                        ; implicit-def: $vgpr24
                                        ; implicit-def: $vgpr14
                                        ; implicit-def: $vgpr34
                                        ; implicit-def: $vgpr36
                                        ; implicit-def: $vgpr38
                                        ; implicit-def: $vgpr32
                                        ; implicit-def: $vgpr40
                                        ; implicit-def: $vgpr48
                                        ; implicit-def: $vgpr18
                                        ; implicit-def: $vgpr10
                                        ; implicit-def: $vgpr50
                                        ; implicit-def: $vgpr26
                                        ; implicit-def: $vgpr12
                                        ; implicit-def: $vgpr22
                                        ; implicit-def: $vgpr20
                                        ; implicit-def: $vgpr16
                                        ; implicit-def: $vgpr1
                                        ; implicit-def: $vgpr42
	s_xor_b64 exec, exec, s[2:3]
	s_cbranch_execz .LBB0_15
; %bb.12:
	s_add_u32 s0, s12, s20
	s_addc_u32 s1, s13, s21
	s_load_dwordx2 s[0:1], s[0:1], 0x0
	s_mov_b32 s12, 0x2222223
                                        ; implicit-def: $vgpr39
                                        ; implicit-def: $vgpr37
                                        ; implicit-def: $vgpr35
	s_waitcnt lgkmcnt(0)
	v_mul_lo_u32 v1, s1, v6
	v_mul_lo_u32 v2, s0, v7
	v_mad_u64_u32 v[8:9], s[0:1], s0, v6, 0
	v_add3_u32 v9, v9, v2, v1
	v_mul_hi_u32 v1, v0, s12
	v_mul_u32_u24_e32 v1, 0x78, v1
	v_sub_u32_e32 v2, v0, v1
	v_mad_u64_u32 v[0:1], s[0:1], s18, v2, 0
	v_mov_b32_e32 v10, v1
	v_mad_u64_u32 v[10:11], s[0:1], s19, v2, v[10:11]
	v_lshl_add_u64 v[8:9], v[8:9], 3, s[4:5]
	v_mov_b32_e32 v1, v10
	v_lshl_add_u64 v[30:31], v[44:45], 3, v[8:9]
	v_lshl_add_u64 v[0:1], v[0:1], 3, v[30:31]
	v_add_u32_e32 v3, 0xc0, v2
	global_load_dwordx2 v[8:9], v[0:1], off
	v_mad_u64_u32 v[0:1], s[0:1], s18, v3, 0
	v_mov_b32_e32 v10, v1
	v_mad_u64_u32 v[10:11], s[0:1], s19, v3, v[10:11]
	v_mov_b32_e32 v1, v10
	v_or_b32_e32 v3, 0x180, v2
	v_lshl_add_u64 v[12:13], v[0:1], 3, v[30:31]
	v_mad_u64_u32 v[0:1], s[0:1], s18, v3, 0
	v_mov_b32_e32 v10, v1
	v_mad_u64_u32 v[10:11], s[0:1], s19, v3, v[10:11]
	v_mov_b32_e32 v1, v10
	v_add_u32_e32 v3, 0x240, v2
	v_lshl_add_u64 v[14:15], v[0:1], 3, v[30:31]
	v_mad_u64_u32 v[0:1], s[0:1], s18, v3, 0
	v_mov_b32_e32 v10, v1
	v_mad_u64_u32 v[10:11], s[0:1], s19, v3, v[10:11]
	v_mov_b32_e32 v1, v10
	v_or_b32_e32 v3, 0x300, v2
	v_lshl_add_u64 v[20:21], v[0:1], 3, v[30:31]
	v_mad_u64_u32 v[0:1], s[0:1], s18, v3, 0
	v_mov_b32_e32 v10, v1
	v_mad_u64_u32 v[10:11], s[0:1], s19, v3, v[10:11]
	v_mov_b32_e32 v1, v10
	v_lshl_add_u64 v[0:1], v[0:1], 3, v[30:31]
	v_add_u32_e32 v3, 0x3c0, v2
	global_load_dwordx2 v[16:17], v[0:1], off
	v_mad_u64_u32 v[0:1], s[0:1], s18, v3, 0
	v_mov_b32_e32 v10, v1
	v_mad_u64_u32 v[10:11], s[0:1], s19, v3, v[10:11]
	v_mov_b32_e32 v1, v10
	v_or_b32_e32 v3, 0x480, v2
	v_lshl_add_u64 v[22:23], v[0:1], 3, v[30:31]
	v_mad_u64_u32 v[0:1], s[0:1], s18, v3, 0
	v_mov_b32_e32 v10, v1
	v_mad_u64_u32 v[10:11], s[0:1], s19, v3, v[10:11]
	v_mov_b32_e32 v1, v10
	v_add_u32_e32 v3, 0x540, v2
	v_lshl_add_u64 v[24:25], v[0:1], 3, v[30:31]
	v_mad_u64_u32 v[0:1], s[0:1], s18, v3, 0
	v_mov_b32_e32 v10, v1
	v_mad_u64_u32 v[10:11], s[0:1], s19, v3, v[10:11]
	v_mov_b32_e32 v1, v10
	v_or_b32_e32 v3, 0x600, v2
	v_lshl_add_u64 v[26:27], v[0:1], 3, v[30:31]
	v_mad_u64_u32 v[0:1], s[0:1], s18, v3, 0
	v_mov_b32_e32 v10, v1
	v_mad_u64_u32 v[10:11], s[0:1], s19, v3, v[10:11]
	v_mov_b32_e32 v1, v10
	v_add_u32_e32 v3, 0x6c0, v2
	v_lshl_add_u64 v[28:29], v[0:1], 3, v[30:31]
	v_mad_u64_u32 v[0:1], s[0:1], s18, v3, 0
	v_mov_b32_e32 v10, v1
	v_mad_u64_u32 v[10:11], s[0:1], s19, v3, v[10:11]
	v_mov_b32_e32 v1, v10
	v_lshl_add_u64 v[32:33], v[0:1], 3, v[30:31]
	global_load_dwordx2 v[48:49], v[20:21], off
	global_load_dwordx2 v[44:45], v[14:15], off
	;; [unrolled: 1-line block ×8, first 2 shown]
	s_movk_i32 s0, 0x48
	v_cmp_gt_u32_e64 s[0:1], s0, v2
                                        ; implicit-def: $vgpr21
                                        ; implicit-def: $vgpr23
                                        ; implicit-def: $vgpr13
                                        ; implicit-def: $vgpr27
                                        ; implicit-def: $vgpr15
                                        ; implicit-def: $vgpr25
                                        ; implicit-def: $vgpr29
	s_and_saveexec_b64 s[4:5], s[0:1]
	s_cbranch_execz .LBB0_14
; %bb.13:
	v_add_u32_e32 v3, 0x78, v2
	v_mad_u64_u32 v[12:13], s[0:1], s18, v3, 0
	v_mov_b32_e32 v14, v13
	v_mad_u64_u32 v[14:15], s[0:1], s19, v3, v[14:15]
	v_mov_b32_e32 v13, v14
	v_lshl_add_u64 v[12:13], v[12:13], 3, v[30:31]
	v_add_u32_e32 v3, 0x138, v2
	global_load_dwordx2 v[32:33], v[12:13], off
	v_mad_u64_u32 v[12:13], s[0:1], s18, v3, 0
	v_mov_b32_e32 v14, v13
	v_mad_u64_u32 v[14:15], s[0:1], s19, v3, v[14:15]
	v_mov_b32_e32 v13, v14
	v_add_u32_e32 v3, 0x1f8, v2
	v_lshl_add_u64 v[26:27], v[12:13], 3, v[30:31]
	v_mad_u64_u32 v[12:13], s[0:1], s18, v3, 0
	v_mov_b32_e32 v14, v13
	v_mad_u64_u32 v[14:15], s[0:1], s19, v3, v[14:15]
	v_mov_b32_e32 v13, v14
	v_add_u32_e32 v3, 0x2b8, v2
	v_lshl_add_u64 v[28:29], v[12:13], 3, v[30:31]
	v_mad_u64_u32 v[12:13], s[0:1], s18, v3, 0
	v_mov_b32_e32 v14, v13
	v_mad_u64_u32 v[14:15], s[0:1], s19, v3, v[14:15]
	v_mov_b32_e32 v13, v14
	v_add_u32_e32 v3, 0x378, v2
	v_lshl_add_u64 v[46:47], v[12:13], 3, v[30:31]
	v_mad_u64_u32 v[12:13], s[0:1], s18, v3, 0
	v_mov_b32_e32 v14, v13
	v_mad_u64_u32 v[14:15], s[0:1], s19, v3, v[14:15]
	v_add_u32_e32 v3, 0x438, v2
	v_mov_b32_e32 v13, v14
	v_mad_u64_u32 v[14:15], s[0:1], s18, v3, 0
	v_mov_b32_e32 v20, v15
	v_mad_u64_u32 v[20:21], s[0:1], s19, v3, v[20:21]
	v_mov_b32_e32 v15, v20
	v_add_u32_e32 v3, 0x4f8, v2
	v_lshl_add_u64 v[54:55], v[14:15], 3, v[30:31]
	v_mad_u64_u32 v[14:15], s[0:1], s18, v3, 0
	v_mov_b32_e32 v20, v15
	v_mad_u64_u32 v[20:21], s[0:1], s19, v3, v[20:21]
	v_mov_b32_e32 v15, v20
	v_add_u32_e32 v3, 0x5b8, v2
	v_lshl_add_u64 v[56:57], v[14:15], 3, v[30:31]
	;; [unrolled: 6-line block ×3, first 2 shown]
	v_mad_u64_u32 v[14:15], s[0:1], s18, v3, 0
	v_mov_b32_e32 v20, v15
	v_lshl_add_u64 v[12:13], v[12:13], 3, v[30:31]
	v_mad_u64_u32 v[20:21], s[0:1], s19, v3, v[20:21]
	global_load_dwordx2 v[12:13], v[12:13], off
	v_mov_b32_e32 v15, v20
	v_add_u32_e32 v3, 0x738, v2
	v_lshl_add_u64 v[60:61], v[14:15], 3, v[30:31]
	v_mad_u64_u32 v[14:15], s[0:1], s18, v3, 0
	v_mov_b32_e32 v20, v15
	v_mad_u64_u32 v[20:21], s[0:1], s19, v3, v[20:21]
	v_mov_b32_e32 v15, v20
	v_lshl_add_u64 v[30:31], v[14:15], 3, v[30:31]
	global_load_dwordx2 v[36:37], v[46:47], off
	global_load_dwordx2 v[62:63], v[28:29], off
	;; [unrolled: 1-line block ×8, first 2 shown]
	s_waitcnt vmcnt(9)
	v_mov_b32_e32 v26, v32
	v_mov_b32_e32 v28, v33
	s_waitcnt vmcnt(6)
	v_mov_b32_e32 v27, v63
	v_mov_b32_e32 v29, v62
.LBB0_14:
	s_or_b64 exec, exec, s[4:5]
	s_waitcnt vmcnt(6)
	v_mov_b32_e32 v30, v45
	v_mov_b32_e32 v32, v9
	;; [unrolled: 1-line block ×4, first 2 shown]
	s_waitcnt vmcnt(3)
	v_mov_b32_e32 v17, v0
	s_waitcnt vmcnt(1)
	v_mov_b32_e32 v0, v43
.LBB0_15:
	s_or_b64 exec, exec, s[2:3]
	s_mov_b32 s2, 0x3f737871
	s_mov_b32 s3, 0x3f167918
	v_add_f32_e32 v3, v33, v42
	v_pk_add_f32 v[54:55], v[30:31], v[0:1] neg_lo:[0,1] neg_hi:[0,1]
	s_mov_b32 s0, s3
	s_mov_b32 s1, s2
	v_fma_f32 v3, -0.5, v3, v8
	v_pk_mul_f32 v[46:47], v[54:55], s[0:1]
	v_mov_b32_e32 v9, v42
	v_mov_b32_e32 v44, v33
	v_add_f32_e32 v45, v47, v3
	v_sub_f32_e32 v56, v45, v46
	v_pk_add_f32 v[58:59], v[44:45], v[8:9] op_sel_hi:[0,1]
	v_pk_add_f32 v[44:45], v[42:43], v[16:17] op_sel_hi:[0,1] neg_lo:[0,1] neg_hi:[0,1]
	v_sub_f32_e32 v3, v3, v47
	v_mov_b32_e32 v59, v45
	v_add_f32_e32 v57, v46, v3
	v_pk_add_f32 v[60:61], v[40:41], v[18:19] neg_lo:[0,1] neg_hi:[0,1]
	s_waitcnt vmcnt(0)
	v_pk_add_f32 v[44:45], v[48:49], v[10:11]
	v_pk_add_f32 v[46:47], v[40:41], v[48:49] neg_lo:[0,1] neg_hi:[0,1]
	v_pk_add_f32 v[62:63], v[18:19], v[10:11] neg_lo:[0,1] neg_hi:[0,1]
	v_pk_fma_f32 v[44:45], v[44:45], 0.5, v[50:51] op_sel_hi:[1,0,1] neg_lo:[1,0,0] neg_hi:[1,0,0]
	v_pk_add_f32 v[46:47], v[46:47], v[62:63]
	v_pk_mul_f32 v[62:63], v[60:61], s[2:3] op_sel_hi:[1,0]
	s_mov_b32 s12, s3
	v_pk_add_f32 v[64:65], v[44:45], v[62:63] op_sel:[0,1] op_sel_hi:[1,0] neg_lo:[0,1] neg_hi:[0,1]
	v_pk_add_f32 v[44:45], v[62:63], v[44:45] op_sel:[1,0] op_sel_hi:[0,1]
	v_pk_add_f32 v[62:63], v[48:49], v[10:11] neg_lo:[0,1] neg_hi:[0,1]
	s_mov_b32 s4, 0x3e9e377a
	v_pk_mul_f32 v[66:67], v[62:63], s[12:13] op_sel_hi:[1,0]
	s_mov_b32 s5, 0xbe9e377a
	v_pk_add_f32 v[64:65], v[66:67], v[64:65] op_sel:[1,0] op_sel_hi:[0,1]
	v_pk_add_f32 v[66:67], v[44:45], v[66:67] op_sel:[0,1] op_sel_hi:[1,0] neg_lo:[0,1] neg_hi:[0,1]
	v_pk_fma_f32 v[44:45], v[46:47], s[4:5], v[64:65] op_sel_hi:[1,0,1]
	v_pk_add_f32 v[64:65], v[40:41], v[18:19]
	v_pk_fma_f32 v[46:47], v[46:47], s[4:5], v[66:67] op_sel_hi:[1,0,1]
	v_pk_fma_f32 v[64:65], v[64:65], 0.5, v[50:51] op_sel_hi:[1,0,1] neg_lo:[1,0,0] neg_hi:[1,0,0]
	v_pk_add_f32 v[50:51], v[50:51], v[48:49]
	v_pk_add_f32 v[48:49], v[48:49], v[40:41] neg_lo:[0,1] neg_hi:[0,1]
	v_pk_add_f32 v[66:67], v[10:11], v[18:19] neg_lo:[0,1] neg_hi:[0,1]
	v_pk_mul_f32 v[60:61], v[60:61], s[12:13] op_sel_hi:[1,0]
	v_pk_add_f32 v[66:67], v[48:49], v[66:67]
	v_pk_mul_f32 v[48:49], v[62:63], s[2:3] op_sel_hi:[1,0]
	v_mov_b32_e32 v68, v51
	v_pk_add_f32 v[62:63], v[64:65], v[48:49] op_sel:[0,1] op_sel_hi:[1,0] neg_lo:[0,1] neg_hi:[0,1]
	v_pk_add_f32 v[48:49], v[64:65], v[48:49] op_sel:[0,1] op_sel_hi:[1,0]
	v_pk_add_f32 v[62:63], v[62:63], v[60:61] op_sel:[0,1] op_sel_hi:[1,0] neg_lo:[0,1] neg_hi:[0,1]
	v_pk_mul_f32 v[64:65], v[66:67], s[4:5] op_sel_hi:[1,0]
	v_pk_add_f32 v[60:61], v[60:61], v[48:49] op_sel:[1,0] op_sel_hi:[0,1]
	v_mov_b32_e32 v48, v41
	v_mov_b32_e32 v49, v64
	;; [unrolled: 1-line block ×4, first 2 shown]
	v_pk_add_f32 v[48:49], v[68:69], v[48:49]
	v_pk_add_f32 v[68:69], v[32:33], v[2:3] neg_lo:[0,1] neg_hi:[0,1]
	v_add_f32_e32 v3, v17, v16
	v_mov_b32_e32 v68, v16
	v_pk_add_f32 v[58:59], v[58:59], v[68:69]
	v_mov_b32_e32 v68, v8
	v_fmac_f32_e32 v68, -0.5, v3
	v_pk_mul_f32 v[54:55], v[54:55], s[2:3]
	s_mov_b32 s1, s4
	v_mov_b32_e32 v8, v17
	v_sub_f32_e32 v3, v68, v54
	v_pk_add_f32 v[70:71], v[58:59], v[8:9]
	v_pk_mul_f32 v[58:59], v[58:59], s[0:1]
	v_sub_f32_e32 v43, v3, v55
	v_mov_b32_e32 v71, v59
	v_pk_add_f32 v[70:71], v[70:71], v[42:43]
	v_mov_b32_e32 v43, v42
	v_mov_b32_e32 v42, v33
	v_pk_add_f32 v[42:43], v[16:17], v[42:43] neg_lo:[0,1] neg_hi:[0,1]
	v_mov_b32_e32 v69, v50
	v_add_f32_e32 v3, v42, v43
	v_mov_b32_e32 v41, v40
	v_mov_b32_e32 v40, v54
	v_mul_f32_e32 v42, 0x3e9e377a, v3
	v_pk_add_f32 v[40:41], v[68:69], v[40:41]
	v_mov_b32_e32 v50, v55
	v_mov_b32_e32 v51, v18
	v_and_b32_e32 v3, 1, v52
	v_mov_b32_e32 v72, v45
	v_mov_b32_e32 v73, v47
	v_pk_add_f32 v[40:41], v[40:41], v[50:51]
	v_mov_b32_e32 v50, v59
	v_mov_b32_e32 v51, v10
	v_add_f32_e32 v10, v65, v61
	v_mov_b32_e32 v18, 0x780
	v_cmp_eq_u32_e64 s[0:1], 1, v3
	v_pk_add_f32 v[42:43], v[42:43], v[56:57] op_sel_hi:[0,1]
	v_mov_b32_e32 v56, v46
	v_mov_b32_e32 v57, v44
	v_pk_mul_f32 v[72:73], v[72:73], s[2:3] op_sel_hi:[1,0]
	v_pk_add_f32 v[40:41], v[50:51], v[40:41]
	v_cndmask_b32_e64 v3, 0, v18, s[0:1]
	s_mov_b32 s0, 0x3f4f1bbd
	v_mul_f32_e32 v18, 0x3f167918, v10
	v_pk_fma_f32 v[72:73], v[56:57], s[4:5], v[72:73] neg_lo:[0,0,1] neg_hi:[0,0,1]
	v_fma_f32 v51, v49, s0, -v18
	v_mov_b32_e32 v50, v41
	v_mad_u32_u24 v18, v2, 40, 0
	v_mov_b32_e32 v61, v63
	v_lshl_add_u32 v74, v3, 2, v18
	v_pk_add_f32 v[52:53], v[42:43], v[72:73]
	v_pk_add_f32 v[54:55], v[70:71], v[50:51]
	v_pk_fma_f32 v[62:63], v[66:67], s[4:5], v[60:61] op_sel_hi:[1,0,1]
	ds_write2_b64 v74, v[54:55], v[52:53] offset1:1
	v_mov_b32_e32 v53, v42
	s_mov_b32 s1, 0xbf4f1bbd
	v_mul_f32_e32 v42, 0x3f167918, v63
	v_mov_b32_e32 v50, v51
	v_mov_b32_e32 v51, v72
	;; [unrolled: 1-line block ×4, first 2 shown]
	v_fma_f32 v76, v62, s1, -v42
	v_pk_add_f32 v[50:51], v[52:53], v[50:51] neg_lo:[0,1] neg_hi:[0,1]
	v_pk_add_f32 v[52:53], v[76:77], v[40:41]
	v_pk_add_f32 v[54:55], v[76:77], v[40:41] neg_lo:[0,1] neg_hi:[0,1]
	v_pk_add_f32 v[66:67], v[34:35], v[24:25] neg_lo:[0,1] neg_hi:[0,1]
	v_mov_b32_e32 v53, v55
	ds_write2_b64 v74, v[52:53], v[50:51] offset0:2 offset1:3
	v_mov_b32_e32 v50, v12
	v_mov_b32_e32 v51, v20
	;; [unrolled: 1-line block ×4, first 2 shown]
	v_pk_add_f32 v[54:55], v[50:51], v[52:53] neg_lo:[0,1] neg_hi:[0,1]
	v_pk_add_f32 v[50:51], v[34:35], v[36:37] neg_lo:[0,1] neg_hi:[0,1]
	v_pk_add_f32 v[52:53], v[24:25], v[14:15] neg_lo:[0,1] neg_hi:[0,1]
	v_pk_mul_f32 v[56:57], v[66:67], s[2:3] op_sel_hi:[1,0]
	v_pk_add_f32 v[50:51], v[52:53], v[50:51]
	v_pk_add_f32 v[52:53], v[36:37], v[14:15]
	v_pk_add_f32 v[70:71], v[36:37], v[14:15] neg_lo:[0,1] neg_hi:[0,1]
	v_pk_fma_f32 v[52:53], v[52:53], 0.5, v[38:39] op_sel_hi:[1,0,1] neg_lo:[1,0,0] neg_hi:[1,0,0]
	v_pk_add_f32 v[78:79], v[38:39], v[36:37]
	v_pk_add_f32 v[58:59], v[52:53], v[56:57] op_sel:[0,1] op_sel_hi:[1,0] neg_lo:[0,1] neg_hi:[0,1]
	v_pk_add_f32 v[52:53], v[52:53], v[56:57] op_sel:[0,1] op_sel_hi:[1,0]
	v_pk_mul_f32 v[56:57], v[70:71], s[12:13] op_sel_hi:[1,0]
	v_add_f32_e32 v41, v29, v22
	v_pk_add_f32 v[58:59], v[56:57], v[58:59] op_sel:[1,0] op_sel_hi:[0,1]
	v_pk_add_f32 v[52:53], v[52:53], v[56:57] op_sel:[0,1] op_sel_hi:[1,0] neg_lo:[0,1] neg_hi:[0,1]
	v_pk_fma_f32 v[58:59], v[50:51], s[4:5], v[58:59] op_sel_hi:[1,0,1]
	v_pk_fma_f32 v[60:61], v[50:51], s[4:5], v[52:53] op_sel_hi:[1,0,1]
	v_pk_add_f32 v[50:51], v[28:29], v[12:13] op_sel_hi:[1,0] neg_lo:[0,1] neg_hi:[0,1]
	v_pk_add_f32 v[52:53], v[22:23], v[20:21] neg_lo:[0,1] neg_hi:[0,1]
	v_mov_b32_e32 v50, v78
	v_mov_b32_e32 v53, v52
	;; [unrolled: 1-line block ×3, first 2 shown]
	v_pk_add_f32 v[50:51], v[50:51], v[52:53]
	v_mul_f32_e32 v52, 0.5, v41
	v_mov_b32_e32 v53, v23
	v_pk_add_f32 v[80:81], v[26:27], v[52:53] neg_lo:[0,1] neg_hi:[0,1]
	v_pk_add_f32 v[64:65], v[12:13], v[20:21] neg_lo:[0,1] neg_hi:[0,1]
	v_pk_add_f32 v[68:69], v[12:13], v[20:21]
	v_mov_b32_e32 v56, v26
	v_mov_b32_e32 v52, v81
	;; [unrolled: 1-line block ×3, first 2 shown]
	v_fmac_f32_e32 v56, -0.5, v68
	v_pk_mul_f32 v[82:83], v[52:53], s[2:3]
	v_mov_b32_e32 v53, 0x3e9e377a
	v_mov_b32_e32 v52, v24
	v_pk_mul_f32 v[84:85], v[52:53], v[50:51]
	v_pk_add_f32 v[50:51], v[24:25], v[50:51]
	v_sub_f32_e32 v41, v56, v82
	v_mov_b32_e32 v51, v85
	v_sub_f32_e32 v53, v41, v83
	v_mov_b32_e32 v52, v14
	v_pk_add_f32 v[52:53], v[52:53], v[50:51]
	v_pk_add_f32 v[50:51], v[26:27], v[28:29] op_sel_hi:[0,1]
	v_mov_b32_e32 v50, v82
	v_mov_b32_e32 v57, v12
	v_pk_add_f32 v[50:51], v[50:51], v[56:57]
	v_mov_b32_e32 v56, v83
	v_mov_b32_e32 v57, v20
	v_pk_add_f32 v[50:51], v[50:51], v[56:57]
	;; [unrolled: 3-line block ×3, first 2 shown]
	v_mul_f32_e32 v56, 0x3f737871, v65
	v_mov_b32_e32 v57, 0x3f167918
	v_pk_mul_f32 v[82:83], v[80:81], s[2:3]
	v_pk_add_f32 v[84:85], v[80:81], v[56:57]
	v_mov_b32_e32 v82, v83
	v_fmamk_f32 v83, v65, 0xbf737871, v80
	v_pk_fma_f32 v[56:57], v[80:81], v[56:57], v[82:83]
	v_pk_add_f32 v[80:81], v[84:85], v[82:83] neg_lo:[0,1] neg_hi:[0,1]
	v_add_f32_e32 v12, v54, v55
	v_mov_b32_e32 v81, v57
	v_mul_f32_e32 v12, 0x3e9e377a, v12
	v_pk_add_f32 v[54:55], v[12:13], v[80:81] op_sel_hi:[0,1]
	v_mov_b32_e32 v80, v59
	v_mov_b32_e32 v81, v61
	;; [unrolled: 1-line block ×4, first 2 shown]
	v_pk_mul_f32 v[80:81], v[80:81], s[2:3] op_sel_hi:[1,0]
	v_pk_mul_f32 v[70:71], v[70:71], s[2:3] op_sel_hi:[1,0]
	v_pk_fma_f32 v[56:57], v[56:57], s[4:5], v[80:81] neg_lo:[0,0,1] neg_hi:[0,0,1]
	v_pk_add_f32 v[80:81], v[24:25], v[34:35]
	v_pk_mul_f32 v[66:67], v[66:67], s[12:13] op_sel_hi:[1,0]
	v_pk_fma_f32 v[38:39], v[80:81], 0.5, v[38:39] op_sel_hi:[1,0,1] neg_lo:[1,0,0] neg_hi:[1,0,0]
	v_pk_add_f32 v[36:37], v[36:37], v[34:35] neg_lo:[0,1] neg_hi:[0,1]
	v_pk_add_f32 v[80:81], v[38:39], v[70:71] op_sel:[0,1] op_sel_hi:[1,0] neg_lo:[0,1] neg_hi:[0,1]
	v_pk_add_f32 v[38:39], v[70:71], v[38:39] op_sel:[1,0] op_sel_hi:[0,1]
	v_pk_add_f32 v[70:71], v[80:81], v[66:67] op_sel:[0,1] op_sel_hi:[1,0] neg_lo:[0,1] neg_hi:[0,1]
	v_pk_add_f32 v[38:39], v[66:67], v[38:39] op_sel:[1,0] op_sel_hi:[0,1]
	v_pk_add_f32 v[66:67], v[14:15], v[24:25] neg_lo:[0,1] neg_hi:[0,1]
	v_mov_b32_e32 v34, v35
	v_pk_add_f32 v[36:37], v[66:67], v[36:37]
	s_nop 0
	v_pk_mul_f32 v[80:81], v[36:37], s[4:5] op_sel_hi:[1,0]
	s_nop 0
	v_add_f32_e32 v12, v81, v39
	v_mov_b32_e32 v39, v71
	v_pk_fma_f32 v[66:67], v[36:37], s[4:5], v[38:39] op_sel_hi:[1,0,1]
	v_mov_b32_e32 v36, v79
	v_mov_b32_e32 v37, v70
	;; [unrolled: 1-line block ×3, first 2 shown]
	v_pk_add_f32 v[70:71], v[36:37], v[34:35]
	v_mov_b32_e32 v34, v43
	v_mov_b32_e32 v35, v40
	;; [unrolled: 1-line block ×4, first 2 shown]
	v_mul_f32_e32 v14, 0x3f167918, v67
	v_pk_add_f32 v[34:35], v[34:35], v[36:37] neg_lo:[0,1] neg_hi:[0,1]
	v_fma_f32 v36, v66, s1, -v14
	v_mul_f32_e32 v14, 0x3f167918, v12
	ds_write_b64 v74, v[34:35] offset:32
	v_mov_b32_e32 v37, v52
	v_mov_b32_e32 v34, v53
	;; [unrolled: 1-line block ×3, first 2 shown]
	v_fma_f32 v72, v71, s0, -v14
	v_mov_b32_e32 v73, v56
	s_movk_i32 s0, 0x48
	v_pk_add_f32 v[38:39], v[34:35], v[72:73] neg_lo:[0,1] neg_hi:[0,1]
	v_cmp_gt_u32_e64 s[2:3], s0, v2
	v_pk_add_f32 v[34:35], v[54:55], v[56:57]
	v_pk_add_f32 v[40:41], v[50:51], v[36:37]
	v_pk_add_f32 v[42:43], v[50:51], v[36:37] neg_lo:[0,1] neg_hi:[0,1]
	s_and_saveexec_b64 s[0:1], s[2:3]
	s_cbranch_execz .LBB0_17
; %bb.16:
	v_mov_b32_e32 v76, v51
	v_mov_b32_e32 v77, v72
	v_add_u32_e32 v14, 0x12c0, v74
	v_pk_add_f32 v[52:53], v[76:77], v[52:53]
	ds_write2_b64 v14, v[52:53], v[34:35] offset1:1
	v_mov_b32_e32 v52, v55
	v_mov_b32_e32 v53, v50
	v_mov_b32_e32 v50, v57
	v_mov_b32_e32 v51, v36
	v_add_u32_e32 v14, 0x12d0, v74
	v_mov_b32_e32 v41, v43
	v_pk_add_f32 v[36:37], v[52:53], v[50:51] neg_lo:[0,1] neg_hi:[0,1]
	ds_write2_b64 v14, v[40:41], v[38:39] offset1:1
	ds_write_b64 v74, v[36:37] offset:4832
.LBB0_17:
	s_or_b64 exec, exec, s[0:1]
	v_lshlrev_b32_e32 v3, 2, v3
	v_mul_i32_i24_e32 v14, 0xffffffdc, v2
	v_add3_u32 v65, v18, v14, v3
	v_add_u32_e32 v14, 0x180, v65
	s_waitcnt lgkmcnt(0)
	s_barrier
	ds_read2_b32 v[36:37], v14 offset0:24 offset1:224
	v_add_u32_e32 v14, 0x680, v65
	ds_read2_b32 v[56:57], v14 offset0:24 offset1:224
	v_add_u32_e32 v14, 0xb80, v65
	;; [unrolled: 2-line block ×3, first 2 shown]
	v_lshlrev_b32_e32 v26, 2, v2
	ds_read2_b32 v[50:51], v14 offset0:24 offset1:224
	v_add_u32_e32 v14, 0x1580, v65
	v_add3_u32 v42, 0, v3, v26
	ds_read2_b32 v[52:53], v14 offset0:24 offset1:224
	ds_read_b32 v68, v42
	ds_read_b32 v72, v65 offset:6880
	s_movk_i32 s0, 0x50
	v_cmp_gt_u32_e64 s[0:1], s0, v2
	s_and_saveexec_b64 s[4:5], s[0:1]
	s_cbranch_execz .LBB0_19
; %bb.18:
	v_add_u32_e32 v14, 0xc0, v65
	ds_read2st64_b32 v[34:35], v14 offset0:3 offset1:8
	ds_read2st64_b32 v[40:41], v14 offset0:13 offset1:18
	ds_read2st64_b32 v[38:39], v14 offset0:23 offset1:28
	s_waitcnt lgkmcnt(1)
	v_mov_b32_e32 v43, v41
.LBB0_19:
	s_or_b64 exec, exec, s[4:5]
	v_mov_b32_e32 v78, v30
	v_mov_b32_e32 v79, v0
	;; [unrolled: 1-line block ×4, first 2 shown]
	v_pk_add_f32 v[82:83], v[78:79], v[80:81] neg_lo:[0,1] neg_hi:[0,1]
	v_pk_add_f32 v[76:77], v[30:31], v[0:1]
	v_pk_add_f32 v[16:17], v[16:17], v[8:9] neg_lo:[0,1] neg_hi:[0,1]
	v_mov_b32_e32 v8, v83
	v_mul_f32_e32 v77, 0.5, v77
	v_pk_add_f32 v[82:83], v[82:83], v[8:9]
	s_mov_b32 s4, 0x3e9e377a
	v_mul_f32_e32 v8, 0.5, v76
	v_pk_add_f32 v[78:79], v[80:81], v[78:79] neg_lo:[0,1] neg_hi:[0,1]
	v_mov_b32_e32 v76, v30
	v_mov_b32_e32 v83, v16
	s_mov_b32 s5, 0x3f167918
	v_add_f32_e32 v14, v78, v79
	v_pk_add_f32 v[78:79], v[32:33], v[30:31]
	v_pk_add_f32 v[76:77], v[32:33], v[76:77] op_sel_hi:[0,1] neg_lo:[0,1] neg_hi:[0,1]
	v_pk_add_f32 v[8:9], v[32:33], v[8:9] neg_lo:[0,1] neg_hi:[0,1]
	v_pk_mul_f32 v[82:83], v[82:83], s[4:5]
	v_mul_f32_e32 v18, 0x3f737871, v16
	v_mov_b32_e32 v79, v77
	v_mov_b32_e32 v20, v19
	v_mul_f32_e32 v17, 0x3f737871, v9
	v_fmamk_f32 v33, v16, 0xbf737871, v8
	v_mov_b32_e32 v19, 0x3f167918
	v_pk_mul_f32 v[84:85], v[8:9], s[4:5]
	v_mov_b32_e32 v16, v31
	v_mov_b32_e32 v80, v1
	;; [unrolled: 1-line block ×3, first 2 shown]
	v_pk_add_f32 v[86:87], v[8:9], v[18:19]
	v_mov_b32_e32 v32, v85
	v_pk_add_f32 v[16:17], v[78:79], v[16:17]
	v_fmac_f32_e32 v77, 0xbf737871, v9
	s_mov_b32 s12, 0x3f737871
	v_mov_b32_e32 v1, v82
	v_pk_fma_f32 v[84:85], v[8:9], v[18:19], v[32:33]
	v_pk_add_f32 v[32:33], v[86:87], v[32:33] neg_lo:[0,1] neg_hi:[0,1]
	v_pk_add_f32 v[16:17], v[16:17], v[80:81]
	v_sub_f32_e32 v8, v77, v83
	s_mov_b32 s13, s4
	s_mov_b32 s15, 0x3f4f1bbd
	v_pk_add_f32 v[76:77], v[48:49], v[20:21]
	v_pk_mul_f32 v[48:49], v[48:49], s[4:5]
	s_mov_b32 s14, s5
	v_mul_f32_e32 v14, 0x3e9e377a, v14
	v_mov_b32_e32 v33, v85
	v_pk_add_f32 v[0:1], v[16:17], v[0:1]
	v_pk_mul_f32 v[16:17], v[46:47], s[12:13]
	v_mov_b32_e32 v77, v49
	v_pk_mul_f32 v[48:49], v[62:63], s[14:15]
	v_pk_add_f32 v[32:33], v[14:15], v[32:33] op_sel_hi:[0,1]
	v_pk_fma_f32 v[30:31], v[44:45], s[12:13], v[16:17] op_sel:[0,0,1] op_sel_hi:[1,1,0]
	v_pk_fma_f32 v[16:17], v[44:45], s[12:13], v[16:17] op_sel:[0,0,1] op_sel_hi:[1,1,0] neg_lo:[0,0,1] neg_hi:[0,0,1]
	v_mul_f32_e32 v47, 0x3f4f1bbd, v10
	v_mov_b32_e32 v46, v11
	v_mov_b32_e32 v14, v49
	v_add_f32_e32 v8, v82, v8
	v_mov_b32_e32 v17, v31
	v_pk_add_f32 v[10:11], v[76:77], v[46:47]
	v_pk_fma_f32 v[48:49], v[62:63], s[14:15], v[14:15] neg_lo:[0,0,1] neg_hi:[0,0,1]
	v_pk_add_f32 v[44:45], v[32:33], v[16:17]
	v_pk_add_f32 v[46:47], v[0:1], v[10:11]
	v_pk_add_f32 v[76:77], v[0:1], v[10:11] neg_lo:[0,1] neg_hi:[0,1]
	v_mov_b32_e32 v0, v1
	v_mov_b32_e32 v1, v33
	;; [unrolled: 1-line block ×8, first 2 shown]
	v_pk_add_f32 v[62:63], v[8:9], v[48:49]
	v_pk_add_f32 v[32:33], v[32:33], v[16:17] neg_lo:[0,1] neg_hi:[0,1]
	v_mov_b32_e32 v9, v28
	v_pk_add_f32 v[16:17], v[10:11], v[20:21] neg_lo:[0,1] neg_hi:[0,1]
	v_pk_add_f32 v[30:31], v[0:1], v[30:31] neg_lo:[0,1] neg_hi:[0,1]
	v_mov_b32_e32 v0, v27
	v_fmac_f32_e32 v9, -0.5, v69
	v_mov_b32_e32 v8, v17
	v_pk_add_f32 v[0:1], v[28:29], v[0:1]
	v_pk_add_f32 v[16:17], v[16:17], v[8:9]
	v_add_f32_e32 v1, v27, v23
	v_mov_b32_e32 v17, v64
	v_pk_mul_f32 v[48:49], v[16:17], s[4:5]
	v_mul_f32_e32 v16, 0.5, v1
	v_pk_add_f32 v[10:11], v[20:21], v[10:11] neg_lo:[0,1] neg_hi:[0,1]
	v_mov_b32_e32 v17, v22
	v_add_f32_e32 v1, v10, v11
	v_pk_add_f32 v[28:29], v[28:29], v[16:17] neg_lo:[0,1] neg_hi:[0,1]
	v_mul_f32_e32 v10, 0x3e9e377a, v1
	v_mul_f32_e32 v1, 0x3f737871, v29
	v_mov_b32_e32 v8, v13
	v_pk_add_f32 v[0:1], v[0:1], v[8:9]
	v_mov_b32_e32 v16, v21
	v_mov_b32_e32 v17, v49
	v_pk_add_f32 v[0:1], v[0:1], v[16:17]
	v_mov_b32_e32 v16, v23
	v_mov_b32_e32 v17, v48
	v_fmac_f32_e32 v9, 0xbf737871, v29
	v_mul_f32_e32 v18, 0x3f737871, v64
	v_pk_add_f32 v[16:17], v[16:17], v[0:1]
	v_sub_f32_e32 v0, v9, v49
	v_pk_mul_f32 v[20:21], v[28:29], s[4:5]
	v_add_f32_e32 v8, v48, v0
	v_fmamk_f32 v1, v64, 0xbf737871, v28
	v_pk_add_f32 v[22:23], v[28:29], v[18:19]
	v_mov_b32_e32 v0, v21
	v_pk_fma_f32 v[18:19], v[28:29], v[18:19], v[0:1]
	v_pk_add_f32 v[0:1], v[22:23], v[0:1] neg_lo:[0,1] neg_hi:[0,1]
	v_mov_b32_e32 v14, v25
	v_mov_b32_e32 v1, v19
	v_pk_add_f32 v[18:19], v[10:11], v[0:1] op_sel_hi:[0,1]
	v_mul_f32_e32 v11, 0x3f4f1bbd, v12
	v_pk_add_f32 v[12:13], v[14:15], v[70:71]
	v_pk_mul_f32 v[22:23], v[70:71], s[4:5]
	v_mov_b32_e32 v10, v15
	v_mov_b32_e32 v13, v23
	v_pk_add_f32 v[24:25], v[10:11], v[12:13]
	v_pk_mul_f32 v[10:11], v[66:67], s[14:15]
	v_pk_mul_f32 v[0:1], v[60:61], s[12:13]
	v_mov_b32_e32 v10, v11
	v_pk_fma_f32 v[28:29], v[58:59], s[12:13], v[0:1] op_sel:[0,0,1] op_sel_hi:[1,1,0]
	v_pk_fma_f32 v[20:21], v[58:59], s[12:13], v[0:1] op_sel:[0,0,1] op_sel_hi:[1,1,0] neg_lo:[0,0,1] neg_hi:[0,0,1]
	v_pk_fma_f32 v[22:23], v[66:67], s[14:15], v[10:11] neg_lo:[0,0,1] neg_hi:[0,0,1]
	v_mov_b32_e32 v21, v29
	v_mov_b32_e32 v9, v16
	;; [unrolled: 1-line block ×6, first 2 shown]
	v_pk_add_f32 v[0:1], v[18:19], v[20:21]
	v_pk_add_f32 v[10:11], v[8:9], v[22:23]
	v_pk_add_f32 v[14:15], v[8:9], v[22:23] neg_lo:[0,1] neg_hi:[0,1]
	v_pk_add_f32 v[12:13], v[12:13], v[28:29] neg_lo:[0,1] neg_hi:[0,1]
	v_add_u32_e32 v27, 0x78, v2
	v_mov_b32_e32 v28, v45
	v_mov_b32_e32 v29, v44
	v_mov_b32_e32 v63, v76
	s_waitcnt lgkmcnt(0)
	s_barrier
	ds_write2_b64 v74, v[46:47], v[28:29] offset1:1
	ds_write2_b64 v74, v[62:63], v[30:31] offset0:2 offset1:3
	ds_write_b64 v74, v[32:33] offset:32
	s_and_saveexec_b64 s[4:5], s[2:3]
	s_cbranch_execz .LBB0_21
; %bb.20:
	v_mov_b32_e32 v19, v8
	v_mov_b32_e32 v21, v22
	v_mul_u32_u24_e32 v11, 40, v27
	v_pk_add_f32 v[16:17], v[16:17], v[24:25]
	v_pk_add_f32 v[8:9], v[18:19], v[20:21] neg_lo:[0,1] neg_hi:[0,1]
	v_add3_u32 v14, 0, v11, v3
	v_mov_b32_e32 v18, v1
	v_mov_b32_e32 v19, v0
	;; [unrolled: 1-line block ×3, first 2 shown]
	ds_write2_b64 v14, v[16:17], v[18:19] offset1:1
	ds_write2_b64 v14, v[10:11], v[12:13] offset0:2 offset1:3
	ds_write_b64 v14, v[8:9] offset:32
.LBB0_21:
	s_or_b64 exec, exec, s[4:5]
	v_add_u32_e32 v11, 0x680, v65
	s_waitcnt lgkmcnt(0)
	s_barrier
	ds_read2_b32 v[22:23], v11 offset0:24 offset1:224
	v_add_u32_e32 v11, 0xb80, v65
	ds_read2_b32 v[16:17], v11 offset0:24 offset1:224
	v_add_u32_e32 v11, 0x1080, v65
	v_add_u32_e32 v8, 0x180, v65
	ds_read2_b32 v[18:19], v11 offset0:24 offset1:224
	v_add_u32_e32 v11, 0x1580, v65
	ds_read2_b32 v[8:9], v8 offset0:24 offset1:224
	ds_read2_b32 v[20:21], v11 offset0:24 offset1:224
	ds_read_b32 v14, v42
	ds_read_b32 v32, v65 offset:6880
	s_and_saveexec_b64 s[2:3], s[0:1]
	s_cbranch_execz .LBB0_23
; %bb.22:
	v_add_u32_e32 v0, 0xc0, v65
	ds_read2st64_b32 v[10:11], v0 offset0:13 offset1:18
	ds_read2st64_b32 v[24:25], v0 offset0:3 offset1:8
	;; [unrolled: 1-line block ×3, first 2 shown]
	s_waitcnt lgkmcnt(2)
	v_mov_b32_e32 v15, v11
	s_waitcnt lgkmcnt(1)
	v_mov_b32_e32 v0, v25
	v_mov_b32_e32 v1, v24
.LBB0_23:
	s_or_b64 exec, exec, s[2:3]
	s_movk_i32 s2, 0xcd
	v_mul_lo_u16_sdwa v11, v2, s2 dst_sel:DWORD dst_unused:UNUSED_PAD src0_sel:BYTE_0 src1_sel:DWORD
	v_lshrrev_b16_e32 v64, 11, v11
	v_mul_lo_u16_e32 v11, 10, v64
	v_sub_u16_e32 v69, v2, v11
	v_mov_b32_e32 v11, 5
	v_mul_u32_u24_sdwa v24, v69, v11 dst_sel:DWORD dst_unused:UNUSED_PAD src0_sel:BYTE_0 src1_sel:DWORD
	v_mul_lo_u16_sdwa v25, v27, s2 dst_sel:DWORD dst_unused:UNUSED_PAD src0_sel:BYTE_0 src1_sel:DWORD
	v_lshlrev_b32_e32 v24, 3, v24
	v_lshrrev_b16_e32 v70, 11, v25
	global_load_dwordx4 v[44:47], v24, s[8:9]
	global_load_dwordx4 v[58:61], v24, s[8:9] offset:16
	v_mul_lo_u16_e32 v25, 10, v70
	global_load_dwordx2 v[48:49], v24, s[8:9] offset:32
	v_add_u32_e32 v24, 0xf0, v2
	s_mov_b32 s2, 0xcccd
	v_sub_u16_e32 v71, v27, v25
	v_mul_u32_u24_sdwa v25, v24, s2 dst_sel:DWORD dst_unused:UNUSED_PAD src0_sel:WORD_0 src1_sel:DWORD
	v_lshrrev_b32_e32 v73, 19, v25
	v_mul_lo_u16_e32 v25, 10, v73
	v_mul_u32_u24_sdwa v11, v71, v11 dst_sel:DWORD dst_unused:UNUSED_PAD src0_sel:BYTE_0 src1_sel:DWORD
	v_sub_u16_e32 v90, v24, v25
	v_lshlrev_b32_e32 v11, 3, v11
	v_mul_u32_u24_e32 v24, 5, v90
	global_load_dwordx4 v[74:77], v11, s[8:9]
	global_load_dwordx4 v[78:81], v11, s[8:9] offset:16
	global_load_dwordx2 v[62:63], v11, s[8:9] offset:32
	v_lshlrev_b32_e32 v11, 3, v24
	global_load_dwordx4 v[82:85], v11, s[8:9]
	global_load_dwordx4 v[86:89], v11, s[8:9] offset:16
	global_load_dwordx2 v[66:67], v11, s[8:9] offset:32
	s_movk_i32 s2, 0xf0
	s_waitcnt lgkmcnt(0)
	s_barrier
	s_waitcnt vmcnt(8)
	v_mul_f32_e32 v24, v9, v45
	v_mul_f32_e32 v27, v37, v45
	s_waitcnt vmcnt(7)
	v_mul_f32_e32 v45, v17, v59
	v_mul_f32_e32 v30, v19, v61
	;; [unrolled: 1-line block ×6, first 2 shown]
	v_fmac_f32_e32 v24, v37, v44
	v_fmac_f32_e32 v45, v55, v58
	;; [unrolled: 1-line block ×4, first 2 shown]
	v_fma_f32 v33, v23, v46, -v28
	s_waitcnt vmcnt(5)
	v_mul_f32_e32 v11, v22, v75
	v_mul_f32_e32 v61, v56, v75
	;; [unrolled: 1-line block ×3, first 2 shown]
	s_waitcnt vmcnt(4)
	v_mul_f32_e32 v37, v50, v79
	s_waitcnt vmcnt(3)
	v_mul_f32_e32 v51, v72, v63
	;; [unrolled: 2-line block ×3, first 2 shown]
	v_mul_f32_e32 v25, v16, v77
	v_mul_f32_e32 v57, v18, v79
	v_fma_f32 v23, v17, v58, -v41
	v_fma_f32 v19, v19, v60, -v47
	v_mul_f32_e32 v47, v32, v63
	v_mul_f32_e32 v41, v0, v83
	v_fma_f32 v17, v22, v74, -v61
	v_fma_f32 v22, v16, v76, -v75
	v_fma_f32 v16, v18, v78, -v37
	v_fma_f32 v18, v32, v62, -v51
	v_fma_f32 v32, v0, v82, -v55
	s_waitcnt vmcnt(0)
	v_mul_f32_e32 v0, v39, v67
	v_fma_f32 v37, v13, v66, -v0
	v_add_f32_e32 v0, v68, v29
	v_mul_f32_e32 v46, v13, v67
	v_add_f32_e32 v13, v0, v30
	v_add_f32_e32 v0, v29, v30
	v_mul_f32_e32 v59, v21, v49
	v_fmac_f32_e32 v68, -0.5, v0
	v_sub_f32_e32 v0, v33, v19
	v_mul_f32_e32 v49, v53, v49
	v_fma_f32 v31, v9, v44, -v27
	v_fmac_f32_e32 v59, v53, v48
	v_mul_f32_e32 v27, v10, v85
	v_fmac_f32_e32 v46, v39, v66
	v_fmamk_f32 v39, v0, 0xbf5db3d7, v68
	v_fmac_f32_e32 v68, 0x3f5db3d7, v0
	v_add_f32_e32 v0, v24, v45
	v_fma_f32 v21, v21, v48, -v49
	v_mul_f32_e32 v48, v40, v85
	v_fmac_f32_e32 v27, v40, v84
	v_add_f32_e32 v40, v0, v59
	v_add_f32_e32 v0, v45, v59
	v_fmac_f32_e32 v41, v35, v82
	v_fma_f32 v35, v10, v84, -v48
	v_fmac_f32_e32 v24, -0.5, v0
	v_sub_f32_e32 v10, v23, v21
	v_mul_f32_e32 v44, v15, v87
	v_fmamk_f32 v0, v10, 0xbf5db3d7, v24
	v_fmac_f32_e32 v24, 0x3f5db3d7, v10
	v_add_f32_e32 v10, v23, v21
	v_mul_f32_e32 v9, v20, v81
	v_mul_f32_e32 v49, v43, v87
	;; [unrolled: 1-line block ×4, first 2 shown]
	v_fmac_f32_e32 v25, v54, v76
	v_fmac_f32_e32 v44, v43, v86
	v_fma_f32 v10, -0.5, v10, v31
	v_sub_f32_e32 v43, v45, v59
	v_mul_f32_e32 v77, v52, v81
	v_fmac_f32_e32 v9, v52, v80
	v_fmac_f32_e32 v28, v38, v88
	v_fma_f32 v38, v12, v88, -v53
	v_fmamk_f32 v12, v43, 0x3f5db3d7, v10
	v_add_f32_e32 v48, v13, v40
	v_sub_f32_e32 v53, v13, v40
	v_add_f32_e32 v13, v36, v25
	v_fma_f32 v20, v20, v80, -v77
	v_fmac_f32_e32 v10, 0xbf5db3d7, v43
	v_mul_f32_e32 v43, 0xbf5db3d7, v12
	v_add_f32_e32 v40, v13, v9
	v_add_f32_e32 v13, v25, v9
	v_fmac_f32_e32 v11, v56, v74
	v_fmac_f32_e32 v57, v50, v78
	v_fmac_f32_e32 v43, 0.5, v0
	v_mul_f32_e32 v45, 0xbf5db3d7, v10
	v_fmac_f32_e32 v36, -0.5, v13
	v_sub_f32_e32 v13, v22, v20
	v_fmac_f32_e32 v47, v72, v62
	v_add_f32_e32 v51, v39, v43
	v_fmac_f32_e32 v45, -0.5, v24
	v_sub_f32_e32 v54, v39, v43
	v_fmamk_f32 v43, v13, 0xbf5db3d7, v36
	v_fmac_f32_e32 v36, 0x3f5db3d7, v13
	v_add_f32_e32 v13, v11, v57
	v_add_f32_e32 v52, v68, v45
	v_sub_f32_e32 v55, v68, v45
	v_add_f32_e32 v45, v13, v47
	v_add_f32_e32 v13, v57, v47
	v_fmac_f32_e32 v11, -0.5, v13
	v_sub_f32_e32 v39, v16, v18
	v_fmamk_f32 v13, v39, 0xbf5db3d7, v11
	v_fmac_f32_e32 v11, 0x3f5db3d7, v39
	v_add_f32_e32 v39, v16, v18
	v_fma_f32 v39, -0.5, v39, v17
	v_sub_f32_e32 v47, v57, v47
	v_fmamk_f32 v50, v47, 0x3f5db3d7, v39
	v_fmac_f32_e32 v39, 0xbf5db3d7, v47
	v_mul_f32_e32 v57, 0xbf5db3d7, v39
	v_fma_f32 v15, v15, v86, -v49
	v_mul_f32_e32 v49, 0xbf5db3d7, v50
	v_fmac_f32_e32 v57, -0.5, v11
	v_fmac_f32_e32 v49, 0.5, v13
	v_add_f32_e32 v58, v36, v57
	v_sub_f32_e32 v57, v36, v57
	v_add_f32_e32 v36, v44, v46
	v_add_f32_e32 v56, v43, v49
	v_sub_f32_e32 v60, v43, v49
	v_fma_f32 v36, -0.5, v36, v41
	v_sub_f32_e32 v43, v15, v37
	v_add_f32_e32 v47, v40, v45
	v_sub_f32_e32 v59, v40, v45
	v_fmamk_f32 v40, v43, 0xbf5db3d7, v36
	v_fmac_f32_e32 v36, 0x3f5db3d7, v43
	v_add_f32_e32 v43, v15, v37
	v_fma_f32 v43, -0.5, v43, v32
	v_sub_f32_e32 v49, v44, v46
	v_mov_b32_e32 v61, 2
	v_fmamk_f32 v45, v49, 0x3f5db3d7, v43
	v_fmac_f32_e32 v43, 0xbf5db3d7, v49
	v_mad_u32_u24 v49, v64, s2, 0
	v_lshlrev_b32_sdwa v62, v61, v69 dst_sel:DWORD dst_unused:UNUSED_PAD src0_sel:DWORD src1_sel:BYTE_0
	v_add3_u32 v49, v49, v62, v3
	ds_write2_b32 v49, v48, v51 offset1:10
	ds_write2_b32 v49, v52, v53 offset0:20 offset1:30
	ds_write2_b32 v49, v54, v55 offset0:40 offset1:50
	v_mad_u32_u24 v48, v70, s2, 0
	v_lshlrev_b32_sdwa v51, v61, v71 dst_sel:DWORD dst_unused:UNUSED_PAD src0_sel:DWORD src1_sel:BYTE_0
	v_add3_u32 v51, v48, v51, v3
	ds_write2_b32 v51, v47, v56 offset1:10
	ds_write2_b32 v51, v58, v59 offset0:20 offset1:30
	ds_write2_b32 v51, v60, v57 offset0:40 offset1:50
	v_mul_lo_u16_e32 v47, 60, v73
	v_lshl_add_u32 v48, v90, 2, 0
	s_and_saveexec_b64 s[2:3], s[0:1]
	s_cbranch_execz .LBB0_25
; %bb.24:
	v_add_f32_e32 v52, v27, v28
	v_fma_f32 v52, -0.5, v52, v34
	v_sub_f32_e32 v53, v35, v38
	v_add_f32_e32 v34, v34, v27
	v_add_f32_e32 v41, v41, v44
	v_fmamk_f32 v54, v53, 0x3f5db3d7, v52
	v_fmac_f32_e32 v52, 0xbf5db3d7, v53
	v_mul_f32_e32 v53, 0xbf5db3d7, v45
	v_add_f32_e32 v34, v34, v28
	v_add_f32_e32 v41, v41, v46
	v_mul_f32_e32 v55, 0xbf5db3d7, v43
	v_fmac_f32_e32 v53, 0.5, v40
	v_sub_f32_e32 v44, v34, v41
	v_add_f32_e32 v34, v34, v41
	v_lshlrev_b32_e32 v41, 2, v47
	v_fmac_f32_e32 v55, -0.5, v36
	v_sub_f32_e32 v57, v52, v53
	v_add_f32_e32 v52, v52, v53
	v_add3_u32 v41, v48, v41, v3
	v_sub_f32_e32 v56, v54, v55
	v_add_f32_e32 v46, v54, v55
	ds_write2_b32 v41, v34, v52 offset1:10
	ds_write2_b32 v41, v46, v44 offset0:20 offset1:30
	ds_write2_b32 v41, v57, v56 offset0:40 offset1:50
.LBB0_25:
	s_or_b64 exec, exec, s[2:3]
	v_add_f32_e32 v34, v14, v33
	v_add_f32_e32 v34, v34, v19
	;; [unrolled: 1-line block ×3, first 2 shown]
	v_mul_f32_e32 v12, 0.5, v12
	v_fmac_f32_e32 v14, -0.5, v19
	v_sub_f32_e32 v19, v29, v30
	v_fmac_f32_e32 v12, 0x3f5db3d7, v0
	v_mul_f32_e32 v0, -0.5, v10
	v_fmamk_f32 v29, v19, 0x3f5db3d7, v14
	v_fmac_f32_e32 v14, 0xbf5db3d7, v19
	v_fmac_f32_e32 v0, 0x3f5db3d7, v24
	v_add_f32_e32 v10, v22, v20
	v_add_f32_e32 v46, v14, v0
	v_sub_f32_e32 v14, v14, v0
	v_add_f32_e32 v0, v8, v22
	v_fmac_f32_e32 v8, -0.5, v10
	v_sub_f32_e32 v9, v25, v9
	v_add_f32_e32 v44, v29, v12
	v_sub_f32_e32 v53, v29, v12
	v_fmamk_f32 v10, v9, 0x3f5db3d7, v8
	v_fmac_f32_e32 v8, 0xbf5db3d7, v9
	v_add_f32_e32 v9, v17, v16
	v_mul_f32_e32 v12, 0.5, v50
	v_add_f32_e32 v19, v31, v23
	v_add_f32_e32 v0, v0, v20
	;; [unrolled: 1-line block ×3, first 2 shown]
	v_fmac_f32_e32 v12, 0x3f5db3d7, v13
	v_mul_f32_e32 v13, -0.5, v39
	v_add3_u32 v24, 0, v26, v3
	v_add_f32_e32 v19, v19, v21
	v_add_f32_e32 v54, v0, v9
	v_fmac_f32_e32 v13, 0x3f5db3d7, v11
	v_sub_f32_e32 v56, v0, v9
	v_add_u32_e32 v30, 0x200, v24
	v_add_u32_e32 v25, 0x600, v24
	;; [unrolled: 1-line block ×7, first 2 shown]
	v_add_f32_e32 v41, v34, v19
	v_sub_f32_e32 v52, v34, v19
	v_add_f32_e32 v50, v10, v12
	v_add_f32_e32 v55, v8, v13
	v_sub_f32_e32 v57, v10, v12
	v_sub_f32_e32 v58, v8, v13
	s_waitcnt lgkmcnt(0)
	s_barrier
	ds_read_b32 v34, v42
	ds_read_b32 v39, v65 offset:480
	ds_read2_b32 v[22:23], v30 offset0:112 offset1:232
	ds_read2_b32 v[20:21], v25 offset0:96 offset1:216
	;; [unrolled: 1-line block ×7, first 2 shown]
	s_waitcnt lgkmcnt(0)
	s_barrier
	ds_write2_b32 v49, v41, v44 offset1:10
	ds_write2_b32 v49, v46, v52 offset0:20 offset1:30
	ds_write2_b32 v49, v53, v14 offset0:40 offset1:50
	ds_write2_b32 v51, v54, v50 offset1:10
	ds_write2_b32 v51, v55, v56 offset0:20 offset1:30
	ds_write2_b32 v51, v57, v58 offset0:40 offset1:50
	s_and_saveexec_b64 s[2:3], s[0:1]
	s_cbranch_execz .LBB0_27
; %bb.26:
	v_add_f32_e32 v14, v1, v35
	v_add_f32_e32 v35, v35, v38
	v_fmac_f32_e32 v1, -0.5, v35
	v_sub_f32_e32 v27, v27, v28
	v_add_f32_e32 v15, v32, v15
	v_mul_f32_e32 v32, 0.5, v45
	v_add_f32_e32 v14, v14, v38
	v_fmamk_f32 v28, v27, 0x3f5db3d7, v1
	v_add_f32_e32 v15, v15, v37
	v_fmac_f32_e32 v32, 0x3f5db3d7, v40
	v_fmamk_f32 v1, v27, 0xbf5db3d7, v1
	v_add_f32_e32 v27, v14, v15
	v_add_f32_e32 v35, v28, v32
	v_mul_f32_e32 v37, -0.5, v43
	v_sub_f32_e32 v14, v14, v15
	v_sub_f32_e32 v15, v28, v32
	v_lshlrev_b32_e32 v28, 2, v47
	v_fmac_f32_e32 v37, 0x3f5db3d7, v36
	v_add3_u32 v28, v48, v28, v3
	v_add_f32_e32 v36, v1, v37
	v_sub_f32_e32 v1, v1, v37
	ds_write2_b32 v28, v27, v35 offset1:10
	ds_write2_b32 v28, v36, v14 offset0:20 offset1:30
	ds_write2_b32 v28, v15, v1 offset0:40 offset1:50
.LBB0_27:
	s_or_b64 exec, exec, s[2:3]
	v_subrev_u32_e32 v1, 60, v2
	v_cmp_gt_u32_e64 s[0:1], 60, v2
	v_mov_b32_e32 v15, 0
	s_waitcnt lgkmcnt(0)
	v_cndmask_b32_e64 v1, v1, v2, s[0:1]
	v_mul_i32_i24_e32 v14, 15, v1
	v_lshl_add_u64 v[36:37], v[14:15], 3, s[8:9]
	s_barrier
	global_load_dwordx4 v[44:47], v[36:37], off offset:400
	global_load_dwordx4 v[48:51], v[36:37], off offset:416
	;; [unrolled: 1-line block ×7, first 2 shown]
	global_load_dwordx2 v[40:41], v[36:37], off offset:512
	ds_read_b32 v14, v42
	ds_read_b32 v27, v65 offset:480
	ds_read2_b32 v[36:37], v30 offset0:112 offset1:232
	ds_read2_b32 v[74:75], v25 offset0:96 offset1:216
	;; [unrolled: 1-line block ×7, first 2 shown]
	v_cmp_lt_u32_e64 s[0:1], 59, v2
	s_waitcnt lgkmcnt(0)
	s_barrier
	s_waitcnt vmcnt(7)
	v_mul_f32_e32 v28, v27, v45
	v_mul_f32_e32 v32, v39, v45
	;; [unrolled: 1-line block ×4, first 2 shown]
	s_waitcnt vmcnt(6)
	v_mul_f32_e32 v43, v37, v49
	v_mul_f32_e32 v45, v23, v49
	;; [unrolled: 1-line block ×4, first 2 shown]
	s_waitcnt vmcnt(5)
	v_mul_f32_e32 v51, v75, v53
	v_mul_f32_e32 v64, v76, v55
	;; [unrolled: 1-line block ×3, first 2 shown]
	s_waitcnt vmcnt(4)
	v_mul_f32_e32 v87, v78, v59
	v_fmac_f32_e32 v28, v39, v44
	v_mul_f32_e32 v39, v16, v59
	v_fma_f32 v27, v27, v44, -v32
	s_waitcnt vmcnt(3)
	v_mul_f32_e32 v32, v79, v61
	v_fmac_f32_e32 v35, v22, v46
	v_fma_f32 v22, v36, v46, -v38
	v_mul_f32_e32 v36, v17, v61
	v_mul_f32_e32 v38, v80, v63
	s_waitcnt vmcnt(2)
	v_mul_f32_e32 v59, v82, v69
	v_fma_f32 v37, v37, v48, -v45
	v_mul_f32_e32 v45, v10, v69
	v_fmac_f32_e32 v47, v20, v50
	v_fma_f32 v20, v74, v50, -v49
	s_waitcnt vmcnt(1)
	v_mul_f32_e32 v50, v84, v73
	v_mul_f32_e32 v61, v8, v73
	;; [unrolled: 1-line block ×4, first 2 shown]
	s_waitcnt vmcnt(0)
	v_mul_f32_e32 v63, v85, v41
	v_fmac_f32_e32 v51, v21, v52
	v_mul_f32_e32 v21, v9, v41
	v_fmac_f32_e32 v64, v18, v54
	v_fma_f32 v18, v76, v54, -v55
	v_fmac_f32_e32 v87, v16, v58
	v_fmac_f32_e32 v38, v12, v62
	;; [unrolled: 1-line block ×3, first 2 shown]
	v_fma_f32 v10, v82, v68, -v45
	v_fmac_f32_e32 v50, v8, v72
	v_fma_f32 v8, v84, v72, -v61
	v_mul_f32_e32 v46, v81, v67
	v_fmac_f32_e32 v43, v23, v48
	v_mul_f32_e32 v23, v13, v67
	v_fma_f32 v16, v78, v58, -v39
	v_fma_f32 v12, v80, v62, -v44
	v_fmac_f32_e32 v63, v9, v40
	v_fma_f32 v9, v85, v40, -v21
	v_sub_f32_e32 v21, v34, v87
	v_sub_f32_e32 v10, v20, v10
	;; [unrolled: 1-line block ×4, first 2 shown]
	v_mul_f32_e32 v86, v77, v57
	v_mul_f32_e32 v57, v19, v57
	;; [unrolled: 1-line block ×4, first 2 shown]
	v_fmac_f32_e32 v46, v13, v66
	v_fma_f32 v13, v81, v66, -v23
	v_sub_f32_e32 v16, v14, v16
	v_fma_f32 v23, v34, 2.0, -v21
	v_sub_f32_e32 v34, v47, v59
	v_fma_f32 v20, v20, 2.0, -v10
	v_sub_f32_e32 v12, v22, v12
	v_sub_f32_e32 v39, v64, v50
	v_fma_f32 v18, v18, 2.0, -v8
	v_add_f32_e32 v10, v21, v10
	v_add_f32_e32 v8, v38, v8
	v_fma_f32 v41, v75, v52, -v53
	v_fmac_f32_e32 v86, v19, v56
	v_fma_f32 v19, v77, v56, -v57
	v_fmac_f32_e32 v32, v17, v60
	;; [unrolled: 2-line block ×3, first 2 shown]
	v_fma_f32 v11, v83, v70, -v49
	v_fma_f32 v36, v47, 2.0, -v34
	v_fma_f32 v35, v35, 2.0, -v38
	;; [unrolled: 1-line block ×3, first 2 shown]
	v_sub_f32_e32 v34, v16, v34
	v_fma_f32 v21, v21, 2.0, -v10
	v_sub_f32_e32 v39, v12, v39
	v_fma_f32 v38, v38, 2.0, -v8
	v_fma_f32 v14, v14, 2.0, -v16
	;; [unrolled: 1-line block ×3, first 2 shown]
	v_sub_f32_e32 v32, v28, v32
	v_sub_f32_e32 v44, v51, v48
	;; [unrolled: 1-line block ×6, first 2 shown]
	v_fma_f32 v16, v16, 2.0, -v34
	v_fma_f32 v12, v12, 2.0, -v39
	v_fmamk_f32 v49, v38, 0xbf3504f3, v21
	v_sub_f32_e32 v17, v27, v17
	v_fma_f32 v28, v28, 2.0, -v32
	v_fma_f32 v45, v51, 2.0, -v44
	;; [unrolled: 1-line block ×3, first 2 shown]
	v_sub_f32_e32 v13, v37, v13
	v_fma_f32 v43, v43, 2.0, -v46
	v_fma_f32 v48, v86, 2.0, -v47
	;; [unrolled: 1-line block ×3, first 2 shown]
	v_sub_f32_e32 v20, v14, v20
	v_sub_f32_e32 v40, v35, v40
	v_add_f32_e32 v11, v32, v11
	v_add_f32_e32 v9, v46, v9
	v_fmamk_f32 v50, v12, 0xbf3504f3, v16
	v_fmac_f32_e32 v49, 0x3f3504f3, v12
	v_fma_f32 v27, v27, 2.0, -v17
	v_fma_f32 v37, v37, 2.0, -v13
	;; [unrolled: 1-line block ×3, first 2 shown]
	v_sub_f32_e32 v45, v28, v45
	v_sub_f32_e32 v44, v17, v44
	v_fma_f32 v32, v32, 2.0, -v11
	v_sub_f32_e32 v48, v43, v48
	v_sub_f32_e32 v47, v13, v47
	v_fma_f32 v46, v46, 2.0, -v9
	v_fmac_f32_e32 v50, 0xbf3504f3, v38
	v_fma_f32 v12, v21, 2.0, -v49
	v_sub_f32_e32 v21, v20, v40
	v_fmamk_f32 v38, v8, 0x3f3504f3, v10
	v_fmamk_f32 v40, v39, 0x3f3504f3, v34
	v_sub_f32_e32 v18, v22, v18
	v_sub_f32_e32 v41, v27, v41
	v_fma_f32 v28, v28, 2.0, -v45
	v_fma_f32 v17, v17, 2.0, -v44
	v_sub_f32_e32 v19, v37, v19
	v_fma_f32 v43, v43, 2.0, -v48
	v_fma_f32 v13, v13, 2.0, -v47
	v_fmac_f32_e32 v38, 0x3f3504f3, v39
	v_fmac_f32_e32 v40, 0xbf3504f3, v8
	v_fmamk_f32 v39, v46, 0xbf3504f3, v32
	v_fma_f32 v14, v14, 2.0, -v20
	v_fma_f32 v22, v22, 2.0, -v18
	;; [unrolled: 1-line block ×6, first 2 shown]
	v_sub_f32_e32 v34, v28, v43
	v_fmamk_f32 v43, v13, 0xbf3504f3, v17
	v_fmac_f32_e32 v39, 0x3f3504f3, v13
	v_sub_f32_e32 v22, v14, v22
	v_sub_f32_e32 v37, v27, v37
	v_fmac_f32_e32 v43, 0xbf3504f3, v46
	v_fma_f32 v13, v32, 2.0, -v39
	v_sub_f32_e32 v32, v41, v48
	v_fmamk_f32 v46, v9, 0x3f3504f3, v11
	v_fmamk_f32 v48, v47, 0x3f3504f3, v44
	v_sub_f32_e32 v36, v23, v36
	v_fma_f32 v14, v14, 2.0, -v22
	v_fma_f32 v27, v27, 2.0, -v37
	v_fmac_f32_e32 v46, 0x3f3504f3, v47
	v_fmac_f32_e32 v48, 0xbf3504f3, v9
	v_fma_f32 v16, v16, 2.0, -v50
	v_add_f32_e32 v18, v36, v18
	v_fma_f32 v20, v20, 2.0, -v21
	v_fma_f32 v17, v17, 2.0, -v43
	v_add_f32_e32 v19, v45, v19
	v_fma_f32 v41, v41, 2.0, -v32
	v_fma_f32 v9, v11, 2.0, -v46
	;; [unrolled: 1-line block ×3, first 2 shown]
	v_sub_f32_e32 v44, v14, v27
	v_fmamk_f32 v27, v13, 0xbf6c835e, v12
	v_fma_f32 v23, v23, 2.0, -v36
	v_fma_f32 v36, v36, 2.0, -v18
	;; [unrolled: 1-line block ×3, first 2 shown]
	v_fmamk_f32 v47, v17, 0xbf6c835e, v16
	v_fmac_f32_e32 v27, 0x3ec3ef15, v17
	v_fmamk_f32 v17, v41, 0xbf3504f3, v20
	v_fmac_f32_e32 v47, 0xbec3ef15, v13
	;; [unrolled: 2-line block ×3, first 2 shown]
	v_sub_f32_e32 v35, v23, v35
	v_fmac_f32_e32 v13, 0x3f3504f3, v41
	v_fma_f32 v41, v20, 2.0, -v17
	v_fmamk_f32 v20, v9, 0xbec3ef15, v8
	v_fmamk_f32 v45, v11, 0xbec3ef15, v10
	v_fmac_f32_e32 v20, 0x3f6c835e, v11
	v_fmac_f32_e32 v45, 0xbf6c835e, v9
	v_add_f32_e32 v9, v35, v37
	v_fmamk_f32 v11, v39, 0x3ec3ef15, v49
	v_fma_f32 v23, v23, 2.0, -v35
	v_fma_f32 v51, v10, 2.0, -v45
	;; [unrolled: 1-line block ×3, first 2 shown]
	v_fmamk_f32 v35, v43, 0x3ec3ef15, v50
	v_fmac_f32_e32 v11, 0x3f6c835e, v43
	v_fmamk_f32 v43, v19, 0x3f3504f3, v18
	v_fma_f32 v37, v49, 2.0, -v11
	v_fmamk_f32 v49, v32, 0x3f3504f3, v21
	v_fmac_f32_e32 v43, 0x3f3504f3, v32
	v_mov_b32_e32 v32, 0x3c0
	v_cndmask_b32_e64 v32, 0, v32, s[0:1]
	v_fma_f32 v28, v28, 2.0, -v34
	v_or_b32_e32 v1, v32, v1
	v_sub_f32_e32 v28, v23, v28
	v_lshlrev_b32_e32 v1, 2, v1
	v_fma_f32 v23, v23, 2.0, -v28
	v_fma_f32 v12, v12, 2.0, -v27
	v_fmac_f32_e32 v49, 0xbf3504f3, v19
	v_fmamk_f32 v19, v46, 0x3f6c835e, v38
	v_fmamk_f32 v52, v48, 0x3f6c835e, v40
	v_add3_u32 v3, 0, v1, v3
	v_fma_f32 v36, v36, 2.0, -v13
	v_fma_f32 v8, v8, 2.0, -v20
	v_fmac_f32_e32 v35, 0xbf6c835e, v39
	v_fmac_f32_e32 v19, 0x3ec3ef15, v48
	;; [unrolled: 1-line block ×3, first 2 shown]
	ds_write2_b32 v3, v23, v12 offset1:60
	ds_write2_b32 v3, v36, v8 offset0:120 offset1:180
	v_add_u32_e32 v23, 0x200, v3
	v_fma_f32 v39, v50, 2.0, -v35
	v_fma_f32 v18, v18, 2.0, -v43
	;; [unrolled: 1-line block ×5, first 2 shown]
	ds_write2_b32 v23, v10, v37 offset0:112 offset1:172
	v_add_u32_e32 v36, 0x400, v3
	v_add_u32_e32 v37, 0x600, v3
	;; [unrolled: 1-line block ×5, first 2 shown]
	ds_write2_b32 v36, v18, v21 offset0:104 offset1:164
	ds_write2_b32 v37, v28, v27 offset0:96 offset1:156
	;; [unrolled: 1-line block ×5, first 2 shown]
	s_waitcnt lgkmcnt(0)
	s_barrier
	ds_read2_b32 v[26:27], v26 offset0:64 offset1:184
	ds_read_b32 v32, v42
	ds_read_b32 v28, v65 offset:480
	ds_read2_b32 v[18:19], v30 offset0:112 offset1:232
	ds_read2_b32 v[20:21], v33 offset0:48 offset1:168
	;; [unrolled: 1-line block ×6, first 2 shown]
	v_fma_f32 v14, v14, 2.0, -v44
	v_fma_f32 v16, v16, 2.0, -v47
	v_sub_f32_e32 v34, v22, v34
	v_fma_f32 v22, v22, 2.0, -v34
	s_waitcnt lgkmcnt(0)
	s_barrier
	ds_write2_b32 v3, v14, v16 offset1:60
	ds_write2_b32 v3, v41, v51 offset0:120 offset1:180
	ds_write2_b32 v23, v22, v39 offset0:112 offset1:172
	;; [unrolled: 1-line block ×7, first 2 shown]
	s_waitcnt lgkmcnt(0)
	s_barrier
	s_and_saveexec_b64 s[0:1], vcc
	s_cbranch_execz .LBB0_29
; %bb.28:
	v_mov_b32_e32 v3, v15
	v_lshl_add_u64 v[16:17], v[2:3], 3, s[8:9]
	s_movk_i32 s2, 0x1000
	v_add_co_u32_e32 v22, vcc, s2, v16
	s_movk_i32 s0, 0x2000
	s_nop 0
	v_addc_co_u32_e32 v23, vcc, 0, v17, vcc
	global_load_dwordx2 v[34:35], v[22:23], off offset:3504
	v_add_co_u32_e32 v38, vcc, s0, v16
	v_add_u32_e32 v14, 0x348, v2
	s_nop 0
	v_addc_co_u32_e32 v39, vcc, 0, v17, vcc
	global_load_dwordx2 v[40:41], v[38:39], off offset:368
	v_add_u32_e32 v22, 0x2d0, v2
	v_mul_lo_u32 v3, s11, v6
	v_mul_lo_u32 v7, s10, v7
	v_mad_u64_u32 v[44:45], s[0:1], s10, v6, 0
	v_add_u32_e32 v6, 0xa00, v24
	v_add_u32_e32 v16, 0x1a00, v24
	v_mov_b32_e32 v23, v15
	v_add_u32_e32 v43, 0x600, v24
	v_add_u32_e32 v46, 0x1600, v24
	;; [unrolled: 1-line block ×5, first 2 shown]
	v_mov_b32_e32 v37, v15
	ds_read_b32 v29, v65 offset:480
	ds_read_b32 v33, v42
	v_add3_u32 v45, v45, v7, v3
	ds_read2_b32 v[6:7], v6 offset0:80 offset1:200
	ds_read2_b32 v[16:17], v16 offset0:16 offset1:136
	v_lshl_add_u64 v[24:25], v[14:15], 3, s[8:9]
	v_lshl_add_u64 v[30:31], v[22:23], 3, s[8:9]
	ds_read2_b32 v[14:15], v43 offset0:96 offset1:216
	ds_read2_b32 v[22:23], v46 offset0:32 offset1:152
	;; [unrolled: 1-line block ×5, first 2 shown]
	global_load_dwordx2 v[50:51], v[38:39], off offset:1328
	v_lshl_add_u64 v[44:45], v[44:45], 3, s[6:7]
	v_lshl_add_u64 v[4:5], v[4:5], 3, v[44:45]
	global_load_dwordx2 v[44:45], v[38:39], off offset:2288
	s_mov_b32 s1, 0x88888889
	v_add_u32_e32 v52, 0x78, v2
	v_mul_hi_u32 v3, v2, s1
	v_mul_hi_u32 v53, v52, s1
	v_lshrrev_b32_e32 v3, 9, v3
	v_lshrrev_b32_e32 v54, 9, v53
	v_mul_u32_u24_e32 v3, 0x3c0, v3
	v_mul_u32_u24_e32 v53, 0x3c0, v54
	s_movk_i32 s0, 0x780
	v_sub_u32_e32 v3, v2, v3
	v_sub_u32_e32 v55, v52, v53
	v_mad_u64_u32 v[52:53], s[4:5], s16, v3, 0
	v_add_u32_e32 v61, 0x3c0, v3
	v_mad_u32_u24 v63, v54, s0, v55
	v_mov_b32_e32 v54, v53
	v_mad_u64_u32 v[56:57], s[4:5], s16, v61, 0
	v_mad_u64_u32 v[58:59], s[4:5], s16, v63, 0
	;; [unrolled: 1-line block ×3, first 2 shown]
	v_mov_b32_e32 v60, v57
	v_mov_b32_e32 v62, v59
	;; [unrolled: 1-line block ×3, first 2 shown]
	v_mad_u64_u32 v[54:55], s[4:5], s17, v61, v[60:61]
	v_mad_u64_u32 v[60:61], s[4:5], s17, v63, v[62:63]
	v_mov_b32_e32 v57, v54
	v_mov_b32_e32 v59, v60
	v_lshl_add_u64 v[54:55], v[56:57], 3, v[4:5]
	v_lshl_add_u64 v[56:57], v[58:59], 3, v[4:5]
	;; [unrolled: 1-line block ×3, first 2 shown]
	v_add_u32_e32 v3, 0x3c0, v63
	v_add_u32_e32 v36, 0x258, v2
	v_lshl_add_u64 v[36:37], v[36:37], 3, s[8:9]
	s_waitcnt vmcnt(3) lgkmcnt(0)
	v_pk_mul_f32 v[58:59], v[48:49], v[34:35] op_sel_hi:[0,1]
	v_pk_fma_f32 v[60:61], v[26:27], v[34:35], v[58:59] op_sel:[0,0,1] op_sel_hi:[1,1,0]
	v_pk_fma_f32 v[34:35], v[26:27], v[34:35], v[58:59] op_sel:[0,0,1] op_sel_hi:[0,1,0] neg_lo:[1,0,0] neg_hi:[1,0,0]
	v_mov_b32_e32 v61, v35
	v_pk_add_f32 v[34:35], v[32:33], v[60:61] neg_lo:[0,1] neg_hi:[0,1]
	s_nop 0
	v_pk_fma_f32 v[32:33], v[32:33], 2.0, v[34:35] op_sel_hi:[1,0,1] neg_lo:[0,0,1] neg_hi:[0,0,1]
	global_store_dwordx2 v[52:53], v[32:33], off
	global_store_dwordx2 v[54:55], v[34:35], off
	v_mad_u64_u32 v[32:33], s[4:5], s16, v3, 0
	v_mov_b32_e32 v26, v33
	v_mad_u64_u32 v[34:35], s[4:5], s17, v3, v[26:27]
	v_mov_b32_e32 v26, v49
	v_mov_b32_e32 v33, v34
	s_waitcnt vmcnt(4)
	v_pk_mul_f32 v[34:35], v[26:27], v[40:41] op_sel_hi:[0,1]
	v_mov_b32_e32 v26, v27
	v_pk_fma_f32 v[48:49], v[26:27], v[40:41], v[34:35] op_sel:[0,0,1] op_sel_hi:[1,1,0]
	v_pk_fma_f32 v[26:27], v[26:27], v[40:41], v[34:35] op_sel:[0,0,1] op_sel_hi:[0,1,0] neg_lo:[1,0,0] neg_hi:[1,0,0]
	v_mov_b32_e32 v49, v27
	v_pk_add_f32 v[26:27], v[28:29], v[48:49] neg_lo:[0,1] neg_hi:[0,1]
	v_add_u32_e32 v3, 0xf0, v2
	v_pk_fma_f32 v[28:29], v[28:29], 2.0, v[26:27] op_sel_hi:[1,0,1] neg_lo:[0,0,1] neg_hi:[0,0,1]
	v_lshl_add_u64 v[32:33], v[32:33], 3, v[4:5]
	global_store_dwordx2 v[56:57], v[28:29], off
	global_store_dwordx2 v[32:33], v[26:27], off
	v_mul_hi_u32 v26, v3, s1
	v_lshrrev_b32_e32 v26, 9, v26
	v_mul_u32_u24_e32 v27, 0x3c0, v26
	v_sub_u32_e32 v3, v3, v27
	v_mad_u32_u24 v3, v26, s0, v3
	v_mad_u64_u32 v[26:27], s[4:5], s16, v3, 0
	v_mov_b32_e32 v28, v27
	v_mad_u64_u32 v[28:29], s[4:5], s17, v3, v[28:29]
	v_add_u32_e32 v3, 0x3c0, v3
	v_mov_b32_e32 v27, v28
	v_mad_u64_u32 v[28:29], s[4:5], s16, v3, 0
	v_mov_b32_e32 v32, v29
	v_mad_u64_u32 v[32:33], s[4:5], s17, v3, v[32:33]
	v_mov_b32_e32 v29, v32
	global_load_dwordx2 v[32:33], v[38:39], off offset:3248
	s_waitcnt vmcnt(6)
	v_pk_mul_f32 v[34:35], v[46:47], v[50:51] op_sel_hi:[0,1]
	v_pk_fma_f32 v[38:39], v[20:21], v[50:51], v[34:35] op_sel:[0,0,1] op_sel_hi:[1,1,0]
	v_pk_fma_f32 v[34:35], v[20:21], v[50:51], v[34:35] op_sel:[0,0,1] op_sel_hi:[0,1,0] neg_lo:[1,0,0] neg_hi:[1,0,0]
	v_mov_b32_e32 v39, v35
	v_mov_b32_e32 v34, v18
	;; [unrolled: 1-line block ×3, first 2 shown]
	v_pk_add_f32 v[38:39], v[34:35], v[38:39] neg_lo:[0,1] neg_hi:[0,1]
	v_lshl_add_u64 v[26:27], v[26:27], 3, v[4:5]
	v_pk_fma_f32 v[34:35], v[34:35], 2.0, v[38:39] op_sel_hi:[1,0,1] neg_lo:[0,0,1] neg_hi:[0,0,1]
	v_add_u32_e32 v3, 0x168, v2
	v_lshl_add_u64 v[28:29], v[28:29], 3, v[4:5]
	global_store_dwordx2 v[26:27], v[34:35], off
	global_store_dwordx2 v[28:29], v[38:39], off
	v_mul_hi_u32 v18, v3, s1
	v_add_co_u32_e32 v34, vcc, s2, v36
	v_lshrrev_b32_e32 v18, 9, v18
	s_nop 0
	v_addc_co_u32_e32 v35, vcc, 0, v37, vcc
	v_mul_u32_u24_e32 v20, 0x3c0, v18
	global_load_dwordx2 v[34:35], v[34:35], off offset:3504
	v_sub_u32_e32 v3, v3, v20
	v_mad_u32_u24 v3, v18, s0, v3
	v_mad_u64_u32 v[26:27], s[4:5], s16, v3, 0
	v_mov_b32_e32 v18, v27
	v_mad_u64_u32 v[28:29], s[4:5], s17, v3, v[18:19]
	v_add_u32_e32 v3, 0x3c0, v3
	v_mov_b32_e32 v27, v28
	v_mad_u64_u32 v[28:29], s[4:5], s16, v3, 0
	v_mov_b32_e32 v18, v29
	v_mad_u64_u32 v[36:37], s[4:5], s17, v3, v[18:19]
	v_mov_b32_e32 v18, v47
	v_mov_b32_e32 v29, v36
	s_waitcnt vmcnt(8)
	v_pk_mul_f32 v[36:37], v[18:19], v[44:45] op_sel_hi:[0,1]
	v_mov_b32_e32 v18, v21
	v_pk_fma_f32 v[38:39], v[18:19], v[44:45], v[36:37] op_sel:[0,0,1] op_sel_hi:[1,1,0]
	v_pk_fma_f32 v[20:21], v[18:19], v[44:45], v[36:37] op_sel:[0,0,1] op_sel_hi:[0,1,0] neg_lo:[1,0,0] neg_hi:[1,0,0]
	v_mov_b32_e32 v39, v21
	v_mov_b32_e32 v42, v19
	v_pk_add_f32 v[18:19], v[42:43], v[38:39] neg_lo:[0,1] neg_hi:[0,1]
	v_lshl_add_u64 v[26:27], v[26:27], 3, v[4:5]
	v_pk_fma_f32 v[20:21], v[42:43], 2.0, v[18:19] op_sel_hi:[1,0,1] neg_lo:[0,0,1] neg_hi:[0,0,1]
	v_lshl_add_u64 v[28:29], v[28:29], 3, v[4:5]
	global_store_dwordx2 v[26:27], v[20:21], off
	global_store_dwordx2 v[28:29], v[18:19], off
	v_add_co_u32_e32 v26, vcc, s2, v30
	v_add_u32_e32 v3, 0x1e0, v2
	s_nop 0
	v_addc_co_u32_e32 v27, vcc, 0, v31, vcc
	global_load_dwordx2 v[26:27], v[26:27], off offset:3504
	v_add_co_u32_e32 v24, vcc, s2, v24
	v_mul_hi_u32 v18, v3, s1
	s_nop 0
	v_addc_co_u32_e32 v25, vcc, 0, v25, vcc
	global_load_dwordx2 v[24:25], v[24:25], off offset:3504
	v_lshrrev_b32_e32 v18, 9, v18
	v_mul_u32_u24_e32 v19, 0x3c0, v18
	v_sub_u32_e32 v3, v3, v19
	v_mad_u32_u24 v3, v18, s0, v3
	v_mad_u64_u32 v[18:19], s[4:5], s16, v3, 0
	v_mov_b32_e32 v20, v19
	v_mad_u64_u32 v[20:21], s[4:5], s17, v3, v[20:21]
	v_add_u32_e32 v3, 0x3c0, v3
	v_mov_b32_e32 v19, v20
	v_mad_u64_u32 v[20:21], s[4:5], s16, v3, 0
	v_mov_b32_e32 v28, v21
	v_mad_u64_u32 v[28:29], s[4:5], s17, v3, v[28:29]
	v_mov_b32_e32 v21, v28
	v_add_u32_e32 v3, 0x258, v2
	v_lshl_add_u64 v[18:19], v[18:19], 3, v[4:5]
	v_lshl_add_u64 v[20:21], v[20:21], 3, v[4:5]
	s_waitcnt vmcnt(7)
	v_pk_mul_f32 v[28:29], v[22:23], v[32:33] op_sel_hi:[0,1]
	v_pk_fma_f32 v[30:31], v[12:13], v[32:33], v[28:29] op_sel:[0,0,1] op_sel_hi:[1,1,0]
	v_pk_fma_f32 v[28:29], v[12:13], v[32:33], v[28:29] op_sel:[0,0,1] op_sel_hi:[0,1,0] neg_lo:[1,0,0] neg_hi:[1,0,0]
	v_mov_b32_e32 v28, v10
	v_mul_hi_u32 v10, v3, s1
	v_lshrrev_b32_e32 v10, 9, v10
	v_mov_b32_e32 v31, v29
	v_mov_b32_e32 v29, v14
	v_mul_u32_u24_e32 v12, 0x3c0, v10
	v_pk_add_f32 v[30:31], v[28:29], v[30:31] neg_lo:[0,1] neg_hi:[0,1]
	v_sub_u32_e32 v3, v3, v12
	v_pk_fma_f32 v[28:29], v[28:29], 2.0, v[30:31] op_sel_hi:[1,0,1] neg_lo:[0,0,1] neg_hi:[0,0,1]
	v_mad_u32_u24 v3, v10, s0, v3
	global_store_dwordx2 v[18:19], v[28:29], off
	global_store_dwordx2 v[20:21], v[30:31], off
	v_mad_u64_u32 v[18:19], s[2:3], s16, v3, 0
	v_mov_b32_e32 v10, v19
	v_mad_u64_u32 v[20:21], s[2:3], s17, v3, v[10:11]
	v_add_u32_e32 v3, 0x3c0, v3
	v_mov_b32_e32 v19, v20
	v_mad_u64_u32 v[20:21], s[2:3], s16, v3, 0
	v_mov_b32_e32 v10, v21
	v_mad_u64_u32 v[28:29], s[2:3], s17, v3, v[10:11]
	v_mov_b32_e32 v10, v23
	s_waitcnt vmcnt(6)
	v_pk_mul_f32 v[22:23], v[10:11], v[34:35] op_sel_hi:[0,1]
	v_mov_b32_e32 v10, v13
	v_mov_b32_e32 v21, v28
	v_pk_fma_f32 v[28:29], v[10:11], v[34:35], v[22:23] op_sel:[0,0,1] op_sel_hi:[1,1,0]
	v_pk_fma_f32 v[12:13], v[10:11], v[34:35], v[22:23] op_sel:[0,0,1] op_sel_hi:[0,1,0] neg_lo:[1,0,0] neg_hi:[1,0,0]
	v_mov_b32_e32 v29, v13
	v_mov_b32_e32 v14, v11
	v_pk_add_f32 v[10:11], v[14:15], v[28:29] neg_lo:[0,1] neg_hi:[0,1]
	v_lshl_add_u64 v[18:19], v[18:19], 3, v[4:5]
	v_pk_fma_f32 v[12:13], v[14:15], 2.0, v[10:11] op_sel_hi:[1,0,1] neg_lo:[0,0,1] neg_hi:[0,0,1]
	v_add_u32_e32 v3, 0x2d0, v2
	v_lshl_add_u64 v[20:21], v[20:21], 3, v[4:5]
	global_store_dwordx2 v[18:19], v[12:13], off
	global_store_dwordx2 v[20:21], v[10:11], off
	v_mul_hi_u32 v10, v3, s1
	v_lshrrev_b32_e32 v10, 9, v10
	v_mul_u32_u24_e32 v11, 0x3c0, v10
	v_sub_u32_e32 v3, v3, v11
	v_mad_u32_u24 v3, v10, s0, v3
	v_mad_u64_u32 v[10:11], s[2:3], s16, v3, 0
	v_mov_b32_e32 v12, v11
	v_mad_u64_u32 v[12:13], s[2:3], s17, v3, v[12:13]
	v_add_u32_e32 v3, 0x3c0, v3
	v_mov_b32_e32 v11, v12
	v_mad_u64_u32 v[12:13], s[2:3], s16, v3, 0
	v_mov_b32_e32 v14, v13
	v_mad_u64_u32 v[14:15], s[2:3], s17, v3, v[14:15]
	v_mov_b32_e32 v13, v14
	s_waitcnt vmcnt(5)
	v_pk_mul_f32 v[14:15], v[16:17], v[26:27] op_sel_hi:[0,1]
	v_pk_fma_f32 v[18:19], v[8:9], v[26:27], v[14:15] op_sel:[0,0,1] op_sel_hi:[1,1,0]
	v_pk_fma_f32 v[14:15], v[8:9], v[26:27], v[14:15] op_sel:[0,0,1] op_sel_hi:[0,1,0] neg_lo:[1,0,0] neg_hi:[1,0,0]
	v_mov_b32_e32 v14, v0
	v_add_u32_e32 v0, 0x348, v2
	v_mul_hi_u32 v2, v0, s1
	v_lshrrev_b32_e32 v2, 9, v2
	v_mul_u32_u24_e32 v3, 0x3c0, v2
	v_sub_u32_e32 v0, v0, v3
	v_mov_b32_e32 v19, v15
	v_mov_b32_e32 v15, v6
	v_mad_u32_u24 v6, v2, s0, v0
	v_pk_add_f32 v[18:19], v[14:15], v[18:19] neg_lo:[0,1] neg_hi:[0,1]
	v_mad_u64_u32 v[2:3], s[0:1], s16, v6, 0
	v_lshl_add_u64 v[10:11], v[10:11], 3, v[4:5]
	v_pk_fma_f32 v[14:15], v[14:15], 2.0, v[18:19] op_sel_hi:[1,0,1] neg_lo:[0,0,1] neg_hi:[0,0,1]
	v_mov_b32_e32 v0, v3
	v_lshl_add_u64 v[12:13], v[12:13], 3, v[4:5]
	global_store_dwordx2 v[10:11], v[14:15], off
	global_store_dwordx2 v[12:13], v[18:19], off
	v_mad_u64_u32 v[10:11], s[0:1], s17, v6, v[0:1]
	v_add_u32_e32 v6, 0x3c0, v6
	v_mov_b32_e32 v3, v10
	v_mad_u64_u32 v[10:11], s[0:1], s16, v6, 0
	v_mov_b32_e32 v0, v11
	v_mad_u64_u32 v[12:13], s[0:1], s17, v6, v[0:1]
	v_mov_b32_e32 v11, v12
	v_mov_b32_e32 v0, v17
	v_lshl_add_u64 v[2:3], v[2:3], 3, v[4:5]
	v_lshl_add_u64 v[4:5], v[10:11], 3, v[4:5]
	s_waitcnt vmcnt(6)
	v_pk_mul_f32 v[10:11], v[0:1], v[24:25] op_sel_hi:[0,1]
	v_mov_b32_e32 v0, v9
	v_pk_fma_f32 v[12:13], v[0:1], v[24:25], v[10:11] op_sel:[0,0,1] op_sel_hi:[1,1,0]
	v_pk_fma_f32 v[8:9], v[0:1], v[24:25], v[10:11] op_sel:[0,0,1] op_sel_hi:[0,1,0] neg_lo:[1,0,0] neg_hi:[1,0,0]
	v_mov_b32_e32 v13, v9
	v_mov_b32_e32 v6, v1
	v_pk_add_f32 v[0:1], v[6:7], v[12:13] neg_lo:[0,1] neg_hi:[0,1]
	s_nop 0
	v_pk_fma_f32 v[6:7], v[6:7], 2.0, v[0:1] op_sel_hi:[1,0,1] neg_lo:[0,0,1] neg_hi:[0,0,1]
	global_store_dwordx2 v[2:3], v[6:7], off
	global_store_dwordx2 v[4:5], v[0:1], off
.LBB0_29:
	s_endpgm
	.section	.rodata,"a",@progbits
	.p2align	6, 0x0
	.amdhsa_kernel fft_rtc_back_len1920_factors_10_6_16_2_wgs_240_tpt_120_halfLds_sp_op_CI_CI_sbrr_dirReg
		.amdhsa_group_segment_fixed_size 0
		.amdhsa_private_segment_fixed_size 0
		.amdhsa_kernarg_size 104
		.amdhsa_user_sgpr_count 2
		.amdhsa_user_sgpr_dispatch_ptr 0
		.amdhsa_user_sgpr_queue_ptr 0
		.amdhsa_user_sgpr_kernarg_segment_ptr 1
		.amdhsa_user_sgpr_dispatch_id 0
		.amdhsa_user_sgpr_kernarg_preload_length 0
		.amdhsa_user_sgpr_kernarg_preload_offset 0
		.amdhsa_user_sgpr_private_segment_size 0
		.amdhsa_uses_dynamic_stack 0
		.amdhsa_enable_private_segment 0
		.amdhsa_system_sgpr_workgroup_id_x 1
		.amdhsa_system_sgpr_workgroup_id_y 0
		.amdhsa_system_sgpr_workgroup_id_z 0
		.amdhsa_system_sgpr_workgroup_info 0
		.amdhsa_system_vgpr_workitem_id 0
		.amdhsa_next_free_vgpr 91
		.amdhsa_next_free_sgpr 32
		.amdhsa_accum_offset 92
		.amdhsa_reserve_vcc 1
		.amdhsa_float_round_mode_32 0
		.amdhsa_float_round_mode_16_64 0
		.amdhsa_float_denorm_mode_32 3
		.amdhsa_float_denorm_mode_16_64 3
		.amdhsa_dx10_clamp 1
		.amdhsa_ieee_mode 1
		.amdhsa_fp16_overflow 0
		.amdhsa_tg_split 0
		.amdhsa_exception_fp_ieee_invalid_op 0
		.amdhsa_exception_fp_denorm_src 0
		.amdhsa_exception_fp_ieee_div_zero 0
		.amdhsa_exception_fp_ieee_overflow 0
		.amdhsa_exception_fp_ieee_underflow 0
		.amdhsa_exception_fp_ieee_inexact 0
		.amdhsa_exception_int_div_zero 0
	.end_amdhsa_kernel
	.text
.Lfunc_end0:
	.size	fft_rtc_back_len1920_factors_10_6_16_2_wgs_240_tpt_120_halfLds_sp_op_CI_CI_sbrr_dirReg, .Lfunc_end0-fft_rtc_back_len1920_factors_10_6_16_2_wgs_240_tpt_120_halfLds_sp_op_CI_CI_sbrr_dirReg
                                        ; -- End function
	.section	.AMDGPU.csdata,"",@progbits
; Kernel info:
; codeLenInByte = 10732
; NumSgprs: 38
; NumVgprs: 91
; NumAgprs: 0
; TotalNumVgprs: 91
; ScratchSize: 0
; MemoryBound: 0
; FloatMode: 240
; IeeeMode: 1
; LDSByteSize: 0 bytes/workgroup (compile time only)
; SGPRBlocks: 4
; VGPRBlocks: 11
; NumSGPRsForWavesPerEU: 38
; NumVGPRsForWavesPerEU: 91
; AccumOffset: 92
; Occupancy: 5
; WaveLimiterHint : 1
; COMPUTE_PGM_RSRC2:SCRATCH_EN: 0
; COMPUTE_PGM_RSRC2:USER_SGPR: 2
; COMPUTE_PGM_RSRC2:TRAP_HANDLER: 0
; COMPUTE_PGM_RSRC2:TGID_X_EN: 1
; COMPUTE_PGM_RSRC2:TGID_Y_EN: 0
; COMPUTE_PGM_RSRC2:TGID_Z_EN: 0
; COMPUTE_PGM_RSRC2:TIDIG_COMP_CNT: 0
; COMPUTE_PGM_RSRC3_GFX90A:ACCUM_OFFSET: 22
; COMPUTE_PGM_RSRC3_GFX90A:TG_SPLIT: 0
	.text
	.p2alignl 6, 3212836864
	.fill 256, 4, 3212836864
	.type	__hip_cuid_d4de66281cac3480,@object ; @__hip_cuid_d4de66281cac3480
	.section	.bss,"aw",@nobits
	.globl	__hip_cuid_d4de66281cac3480
__hip_cuid_d4de66281cac3480:
	.byte	0                               ; 0x0
	.size	__hip_cuid_d4de66281cac3480, 1

	.ident	"AMD clang version 19.0.0git (https://github.com/RadeonOpenCompute/llvm-project roc-6.4.0 25133 c7fe45cf4b819c5991fe208aaa96edf142730f1d)"
	.section	".note.GNU-stack","",@progbits
	.addrsig
	.addrsig_sym __hip_cuid_d4de66281cac3480
	.amdgpu_metadata
---
amdhsa.kernels:
  - .agpr_count:     0
    .args:
      - .actual_access:  read_only
        .address_space:  global
        .offset:         0
        .size:           8
        .value_kind:     global_buffer
      - .offset:         8
        .size:           8
        .value_kind:     by_value
      - .actual_access:  read_only
        .address_space:  global
        .offset:         16
        .size:           8
        .value_kind:     global_buffer
      - .actual_access:  read_only
        .address_space:  global
        .offset:         24
        .size:           8
        .value_kind:     global_buffer
      - .actual_access:  read_only
        .address_space:  global
        .offset:         32
        .size:           8
        .value_kind:     global_buffer
      - .offset:         40
        .size:           8
        .value_kind:     by_value
      - .actual_access:  read_only
        .address_space:  global
        .offset:         48
        .size:           8
        .value_kind:     global_buffer
      - .actual_access:  read_only
        .address_space:  global
        .offset:         56
        .size:           8
        .value_kind:     global_buffer
      - .offset:         64
        .size:           4
        .value_kind:     by_value
      - .actual_access:  read_only
        .address_space:  global
        .offset:         72
        .size:           8
        .value_kind:     global_buffer
      - .actual_access:  read_only
        .address_space:  global
        .offset:         80
        .size:           8
        .value_kind:     global_buffer
      - .actual_access:  read_only
        .address_space:  global
        .offset:         88
        .size:           8
        .value_kind:     global_buffer
      - .actual_access:  write_only
        .address_space:  global
        .offset:         96
        .size:           8
        .value_kind:     global_buffer
    .group_segment_fixed_size: 0
    .kernarg_segment_align: 8
    .kernarg_segment_size: 104
    .language:       OpenCL C
    .language_version:
      - 2
      - 0
    .max_flat_workgroup_size: 240
    .name:           fft_rtc_back_len1920_factors_10_6_16_2_wgs_240_tpt_120_halfLds_sp_op_CI_CI_sbrr_dirReg
    .private_segment_fixed_size: 0
    .sgpr_count:     38
    .sgpr_spill_count: 0
    .symbol:         fft_rtc_back_len1920_factors_10_6_16_2_wgs_240_tpt_120_halfLds_sp_op_CI_CI_sbrr_dirReg.kd
    .uniform_work_group_size: 1
    .uses_dynamic_stack: false
    .vgpr_count:     91
    .vgpr_spill_count: 0
    .wavefront_size: 64
amdhsa.target:   amdgcn-amd-amdhsa--gfx950
amdhsa.version:
  - 1
  - 2
...

	.end_amdgpu_metadata
